;; amdgpu-corpus repo=ROCm/rocFFT kind=compiled arch=gfx950 opt=O3
	.text
	.amdgcn_target "amdgcn-amd-amdhsa--gfx950"
	.amdhsa_code_object_version 6
	.protected	bluestein_single_fwd_len1989_dim1_dp_op_CI_CI ; -- Begin function bluestein_single_fwd_len1989_dim1_dp_op_CI_CI
	.globl	bluestein_single_fwd_len1989_dim1_dp_op_CI_CI
	.p2align	8
	.type	bluestein_single_fwd_len1989_dim1_dp_op_CI_CI,@function
bluestein_single_fwd_len1989_dim1_dp_op_CI_CI: ; @bluestein_single_fwd_len1989_dim1_dp_op_CI_CI
; %bb.0:
	s_load_dwordx4 s[4:7], s[0:1], 0x28
	v_mul_u32_u24_e32 v1, 0x1ad, v0
	v_mov_b32_e32 v209, 0
	v_add_u32_sdwa v222, s2, v1 dst_sel:DWORD dst_unused:UNUSED_PAD src0_sel:DWORD src1_sel:WORD_1
	v_mov_b32_e32 v223, v209
	s_waitcnt lgkmcnt(0)
	v_cmp_gt_u64_e32 vcc, s[4:5], v[222:223]
	s_and_saveexec_b64 s[2:3], vcc
	s_cbranch_execz .LBB0_23
; %bb.1:
	s_load_dwordx2 s[12:13], s[0:1], 0x0
	s_load_dwordx2 s[14:15], s[0:1], 0x38
	s_movk_i32 s2, 0x99
	v_mul_lo_u16_sdwa v1, v1, s2 dst_sel:DWORD dst_unused:UNUSED_PAD src0_sel:WORD_1 src1_sel:DWORD
	v_sub_u16_e32 v208, v0, v1
	s_movk_i32 s2, 0x75
	v_cmp_gt_u16_e64 s[4:5], s2, v208
	v_lshlrev_b32_e32 v236, 4, v208
	s_and_saveexec_b64 s[2:3], s[4:5]
	s_cbranch_execz .LBB0_3
; %bb.2:
	s_load_dwordx2 s[8:9], s[0:1], 0x18
	v_mov_b32_e32 v0, s6
	v_mov_b32_e32 v1, s7
	;; [unrolled: 1-line block ×3, first 2 shown]
	s_waitcnt lgkmcnt(0)
	v_lshl_add_u64 v[50:51], s[12:13], 0, v[236:237]
	s_load_dwordx4 s[8:11], s[8:9], 0x0
	v_mov_b32_e32 v52, 0x750
	s_waitcnt lgkmcnt(0)
	v_mad_u64_u32 v[2:3], s[6:7], s10, v222, 0
	v_mad_u64_u32 v[4:5], s[6:7], s8, v208, 0
	v_mov_b32_e32 v6, v3
	v_mov_b32_e32 v8, v5
	v_mad_u64_u32 v[6:7], s[6:7], s11, v222, v[6:7]
	v_mov_b32_e32 v3, v6
	v_mad_u64_u32 v[6:7], s[6:7], s9, v208, v[8:9]
	s_movk_i32 s6, 0x1000
	s_nop 0
	v_add_co_u32_e32 v54, vcc, s6, v50
	s_movk_i32 s7, 0x2000
	s_nop 0
	v_addc_co_u32_e32 v55, vcc, 0, v51, vcc
	v_add_co_u32_e32 v56, vcc, s7, v50
	s_movk_i32 s10, 0x3000
	s_nop 0
	v_addc_co_u32_e32 v57, vcc, 0, v51, vcc
	v_mov_b32_e32 v5, v6
	v_lshl_add_u64 v[0:1], v[2:3], 4, v[0:1]
	v_add_co_u32_e32 v58, vcc, s10, v50
	v_lshl_add_u64 v[48:49], v[4:5], 4, v[0:1]
	s_movk_i32 s11, 0x4000
	v_addc_co_u32_e32 v59, vcc, 0, v51, vcc
	global_load_dwordx4 v[0:3], v[48:49], off
	global_load_dwordx4 v[4:7], v236, s[12:13]
	v_add_co_u32_e32 v60, vcc, s11, v50
	s_mul_i32 s6, s9, 0x750
	v_mad_u64_u32 v[48:49], s[10:11], s8, v52, v[48:49]
	v_add_u32_e32 v49, s6, v49
	v_mad_u64_u32 v[62:63], s[10:11], s8, v52, v[48:49]
	v_addc_co_u32_e32 v61, vcc, 0, v51, vcc
	v_add_u32_e32 v63, s6, v63
	global_load_dwordx4 v[8:11], v236, s[12:13] offset:1872
	global_load_dwordx4 v[12:15], v236, s[12:13] offset:3744
	global_load_dwordx4 v[36:39], v[54:55], off offset:1520
	global_load_dwordx4 v[32:35], v[54:55], off offset:3392
	;; [unrolled: 1-line block ×8, first 2 shown]
	s_nop 0
	global_load_dwordx4 v[54:57], v[48:49], off
	global_load_dwordx4 v[58:61], v[62:63], off
	v_mad_u64_u32 v[48:49], s[10:11], s8, v52, v[62:63]
	v_add_u32_e32 v49, s6, v49
	v_mad_u64_u32 v[70:71], s[10:11], s8, v52, v[48:49]
	v_add_u32_e32 v71, s6, v71
	global_load_dwordx4 v[62:65], v[48:49], off
	global_load_dwordx4 v[66:69], v[70:71], off
	v_mad_u64_u32 v[48:49], s[10:11], s8, v52, v[70:71]
	v_add_u32_e32 v49, s6, v49
	global_load_dwordx4 v[70:73], v[48:49], off
	v_mad_u64_u32 v[48:49], s[10:11], s8, v52, v[48:49]
	v_add_u32_e32 v49, s6, v49
	;; [unrolled: 3-line block ×6, first 2 shown]
	v_mad_u64_u32 v[98:99], s[10:11], s8, v52, v[48:49]
	v_add_u32_e32 v99, s6, v99
	global_load_dwordx4 v[90:93], v[48:49], off
	v_mad_u64_u32 v[110:111], s[10:11], s8, v52, v[98:99]
	s_movk_i32 s7, 0x5000
	v_add_u32_e32 v111, s6, v111
	global_load_dwordx4 v[94:97], v[98:99], off
	v_add_co_u32_e32 v118, vcc, s7, v50
	v_mad_u64_u32 v[114:115], s[10:11], s8, v52, v[110:111]
	s_nop 0
	v_addc_co_u32_e32 v119, vcc, 0, v51, vcc
	global_load_dwordx4 v[98:101], v[110:111], off
	global_load_dwordx4 v[102:105], v[118:119], off offset:112
	global_load_dwordx4 v[106:109], v[118:119], off offset:1984
	v_add_u32_e32 v115, s6, v115
	v_mad_u64_u32 v[126:127], s[10:11], s8, v52, v[114:115]
	v_add_u32_e32 v127, s6, v127
	s_movk_i32 s7, 0x6000
	global_load_dwordx4 v[110:113], v[114:115], off
	v_add_co_u32_e32 v130, vcc, s7, v50
	v_mad_u64_u32 v[134:135], s[10:11], s8, v52, v[126:127]
	global_load_dwordx4 v[114:117], v[126:127], off
	v_addc_co_u32_e32 v131, vcc, 0, v51, vcc
	global_load_dwordx4 v[118:121], v[118:119], off offset:3856
	s_nop 0
	global_load_dwordx4 v[122:125], v[130:131], off offset:1632
	v_add_u32_e32 v135, s6, v135
	v_mad_u64_u32 v[52:53], s[8:9], s8, v52, v[134:135]
	v_add_u32_e32 v53, s6, v53
	s_movk_i32 s6, 0x7000
	global_load_dwordx4 v[126:129], v[134:135], off
	s_nop 0
	global_load_dwordx4 v[130:133], v[130:131], off offset:3504
	v_add_co_u32_e32 v50, vcc, s6, v50
	global_load_dwordx4 v[134:137], v[52:53], off
	s_nop 0
	v_addc_co_u32_e32 v51, vcc, 0, v51, vcc
	global_load_dwordx4 v[138:141], v[50:51], off offset:1280
	s_waitcnt vmcnt(32)
	v_mul_f64 v[48:49], v[2:3], v[6:7]
	v_mul_f64 v[6:7], v[0:1], v[6:7]
	v_fmac_f64_e32 v[48:49], v[0:1], v[4:5]
	v_fma_f64 v[50:51], v[2:3], v[4:5], -v[6:7]
	ds_write_b128 v236, v[48:51]
	s_waitcnt vmcnt(21)
	v_mul_f64 v[0:1], v[56:57], v[10:11]
	v_mul_f64 v[2:3], v[54:55], v[10:11]
	v_fmac_f64_e32 v[0:1], v[54:55], v[8:9]
	v_fma_f64 v[2:3], v[56:57], v[8:9], -v[2:3]
	ds_write_b128 v236, v[0:3] offset:1872
	s_waitcnt vmcnt(20)
	v_mul_f64 v[0:1], v[60:61], v[14:15]
	v_mul_f64 v[2:3], v[58:59], v[14:15]
	v_fmac_f64_e32 v[0:1], v[58:59], v[12:13]
	v_fma_f64 v[2:3], v[60:61], v[12:13], -v[2:3]
	ds_write_b128 v236, v[0:3] offset:3744
	;; [unrolled: 6-line block ×16, first 2 shown]
.LBB0_3:
	s_or_b64 exec, exec, s[2:3]
	s_load_dwordx2 s[2:3], s[0:1], 0x20
	s_load_dwordx2 s[6:7], s[0:1], 0x8
	s_waitcnt lgkmcnt(0)
	s_barrier
	s_waitcnt lgkmcnt(0)
                                        ; implicit-def: $vgpr0_vgpr1
                                        ; implicit-def: $vgpr4_vgpr5
                                        ; implicit-def: $vgpr8_vgpr9
                                        ; implicit-def: $vgpr12_vgpr13
                                        ; implicit-def: $vgpr16_vgpr17
                                        ; implicit-def: $vgpr20_vgpr21
                                        ; implicit-def: $vgpr24_vgpr25
                                        ; implicit-def: $vgpr28_vgpr29
                                        ; implicit-def: $vgpr32_vgpr33
                                        ; implicit-def: $vgpr36_vgpr37
                                        ; implicit-def: $vgpr40_vgpr41
                                        ; implicit-def: $vgpr44_vgpr45
                                        ; implicit-def: $vgpr48_vgpr49
                                        ; implicit-def: $vgpr52_vgpr53
                                        ; implicit-def: $vgpr56_vgpr57
                                        ; implicit-def: $vgpr60_vgpr61
                                        ; implicit-def: $vgpr64_vgpr65
	s_and_saveexec_b64 s[0:1], s[4:5]
	s_cbranch_execz .LBB0_5
; %bb.4:
	ds_read_b128 v[0:3], v236
	ds_read_b128 v[4:7], v236 offset:1872
	ds_read_b128 v[8:11], v236 offset:3744
	;; [unrolled: 1-line block ×16, first 2 shown]
.LBB0_5:
	s_or_b64 exec, exec, s[0:1]
	s_mov_b32 s22, 0x5d8e7cdc
	s_waitcnt lgkmcnt(0)
	v_add_f64 v[92:93], v[6:7], -v[66:67]
	s_mov_b32 s0, 0x370991
	s_mov_b32 s23, 0xbfd71e95
	;; [unrolled: 1-line block ×3, first 2 shown]
	v_add_f64 v[136:137], v[4:5], v[64:65]
	v_add_f64 v[96:97], v[4:5], -v[64:65]
	s_mov_b32 s1, 0x3fedd6d0
	v_mul_f64 v[78:79], v[92:93], s[22:23]
	s_mov_b32 s10, 0x75d4884
	s_mov_b32 s35, 0xbfe58eea
	v_add_f64 v[94:95], v[10:11], -v[62:63]
	v_add_f64 v[138:139], v[6:7], v[66:67]
	v_mul_f64 v[80:81], v[96:97], s[22:23]
	v_fma_f64 v[68:69], s[0:1], v[136:137], v[78:79]
	s_mov_b32 s11, 0x3fe7a5f6
	s_mov_b32 s28, 0x7c9e640b
	v_add_f64 v[144:145], v[8:9], v[60:61]
	v_add_f64 v[98:99], v[8:9], -v[60:61]
	v_mul_f64 v[82:83], v[94:95], s[34:35]
	v_add_f64 v[68:69], v[0:1], v[68:69]
	v_fma_f64 v[70:71], v[138:139], s[0:1], -v[80:81]
	s_mov_b32 s8, 0x2b2883cd
	s_mov_b32 s29, 0xbfeca52d
	v_add_f64 v[146:147], v[10:11], v[62:63]
	v_mul_f64 v[84:85], v[98:99], s[34:35]
	v_fma_f64 v[72:73], s[10:11], v[144:145], v[82:83]
	v_add_f64 v[102:103], v[14:15], -v[58:59]
	v_add_f64 v[70:71], v[2:3], v[70:71]
	s_mov_b32 s9, 0x3fdc86fa
	s_mov_b32 s36, 0xeb564b22
	v_add_f64 v[68:69], v[72:73], v[68:69]
	v_fma_f64 v[72:73], v[146:147], s[10:11], -v[84:85]
	v_add_f64 v[150:151], v[12:13], v[56:57]
	v_add_f64 v[100:101], v[12:13], -v[56:57]
	v_mul_f64 v[86:87], v[102:103], s[28:29]
	s_mov_b32 s16, 0x3259b75e
	s_mov_b32 s37, 0xbfefdd0d
	v_add_f64 v[70:71], v[72:73], v[70:71]
	v_add_f64 v[152:153], v[14:15], v[58:59]
	v_mul_f64 v[88:89], v[100:101], s[28:29]
	v_fma_f64 v[72:73], s[8:9], v[150:151], v[86:87]
	v_add_f64 v[218:219], v[18:19], -v[54:55]
	s_mov_b32 s17, 0x3fb79ee6
	v_add_f64 v[68:69], v[72:73], v[68:69]
	v_fma_f64 v[72:73], v[152:153], s[8:9], -v[88:89]
	s_mov_b32 s42, 0x923c349f
	v_add_f64 v[158:159], v[16:17], v[52:53]
	v_add_f64 v[216:217], v[16:17], -v[52:53]
	v_mul_f64 v[90:91], v[218:219], s[36:37]
	v_add_f64 v[70:71], v[72:73], v[70:71]
	s_mov_b32 s18, 0xc61f0d01
	s_mov_b32 s43, 0x3feec746
	v_add_f64 v[160:161], v[18:19], v[54:55]
	v_mul_f64 v[192:193], v[216:217], s[36:37]
	v_fma_f64 v[72:73], s[16:17], v[158:159], v[90:91]
	v_add_f64 v[224:225], v[22:23], -v[50:51]
	s_mov_b32 s39, 0xbfeec746
	s_mov_b32 s38, s42
	;; [unrolled: 1-line block ×3, first 2 shown]
	v_add_f64 v[68:69], v[72:73], v[68:69]
	v_fma_f64 v[72:73], v[160:161], s[16:17], -v[192:193]
	v_add_f64 v[162:163], v[20:21], v[48:49]
	v_mul_f64 v[194:195], v[224:225], s[38:39]
	v_add_f64 v[220:221], v[20:21], -v[48:49]
	s_mov_b32 s40, 0x6c9a05f6
	v_add_f64 v[70:71], v[72:73], v[70:71]
	v_fma_f64 v[72:73], s[18:19], v[162:163], v[194:195]
	v_add_f64 v[166:167], v[22:23], v[50:51]
	v_mul_f64 v[196:197], v[220:221], s[38:39]
	s_mov_b32 s20, 0x6ed5f1bb
	s_mov_b32 s41, 0xbfe9895b
	v_add_f64 v[238:239], v[26:27], -v[46:47]
	v_add_f64 v[68:69], v[72:73], v[68:69]
	v_fma_f64 v[72:73], v[166:167], s[18:19], -v[196:197]
	s_mov_b32 s21, 0xbfe348c8
	v_add_f64 v[170:171], v[24:25], v[44:45]
	v_mul_f64 v[198:199], v[238:239], s[40:41]
	v_add_f64 v[232:233], v[24:25], -v[44:45]
	s_mov_b32 s44, 0x4363dd80
	v_add_f64 v[70:71], v[72:73], v[70:71]
	v_fma_f64 v[72:73], s[20:21], v[170:171], v[198:199]
	v_add_f64 v[174:175], v[26:27], v[46:47]
	v_mul_f64 v[202:203], v[232:233], s[40:41]
	s_mov_b32 s26, 0x910ea3b9
	s_mov_b32 s45, 0x3fe0d888
	;; [unrolled: 1-line block ×4, first 2 shown]
	v_add_f64 v[254:255], v[30:31], -v[42:43]
	v_add_f64 v[68:69], v[72:73], v[68:69]
	v_fma_f64 v[72:73], v[174:175], s[20:21], -v[202:203]
	s_mov_b32 s27, 0xbfeb34fa
	v_add_f64 v[178:179], v[28:29], v[40:41]
	v_mul_f64 v[204:205], v[254:255], s[48:49]
	v_add_f64 v[250:251], v[28:29], -v[40:41]
	s_mov_b32 s46, 0xacd6c6b4
	v_add_f64 v[70:71], v[72:73], v[70:71]
	v_fma_f64 v[72:73], s[26:27], v[178:179], v[204:205]
	v_add_f64 v[182:183], v[30:31], v[42:43]
	v_mul_f64 v[206:207], v[250:251], s[48:49]
	s_mov_b32 s30, 0x7faef3
	s_mov_b32 s47, 0xbfc7851a
	v_add_f64 v[130:131], v[34:35], -v[38:39]
	v_add_f64 v[68:69], v[72:73], v[68:69]
	v_fma_f64 v[72:73], v[182:183], s[26:27], -v[206:207]
	s_mov_b32 s31, 0xbfef7484
	v_add_f64 v[190:191], v[32:33], v[36:37]
	v_mul_f64 v[210:211], v[130:131], s[46:47]
	v_add_f64 v[128:129], v[32:33], -v[36:37]
	v_add_f64 v[70:71], v[72:73], v[70:71]
	v_fma_f64 v[72:73], s[30:31], v[190:191], v[210:211]
	v_add_f64 v[200:201], v[34:35], v[38:39]
	v_mul_f64 v[212:213], v[128:129], s[46:47]
	v_add_f64 v[112:113], v[72:73], v[68:69]
	v_fma_f64 v[68:69], v[200:201], s[30:31], -v[212:213]
	v_add_f64 v[114:115], v[68:69], v[70:71]
	v_mul_f64 v[214:215], v[92:93], s[34:35]
	v_mul_f64 v[70:71], v[94:95], s[36:37]
	v_fma_f64 v[68:69], s[10:11], v[136:137], v[214:215]
	v_accvgpr_write_b32 a4, v70
	v_add_f64 v[68:69], v[0:1], v[68:69]
	v_accvgpr_write_b32 a5, v71
	v_fma_f64 v[70:71], s[16:17], v[144:145], v[70:71]
	v_add_f64 v[68:69], v[70:71], v[68:69]
	v_mul_f64 v[70:71], v[96:97], s[34:35]
	v_accvgpr_write_b32 a10, v70
	v_mul_f64 v[72:73], v[98:99], s[36:37]
	v_accvgpr_write_b32 a11, v71
	v_fma_f64 v[70:71], v[138:139], s[10:11], -v[70:71]
	v_accvgpr_write_b32 a12, v72
	v_add_f64 v[70:71], v[2:3], v[70:71]
	v_accvgpr_write_b32 a13, v73
	v_fma_f64 v[72:73], v[146:147], s[16:17], -v[72:73]
	v_add_f64 v[70:71], v[72:73], v[70:71]
	v_mul_f64 v[72:73], v[102:103], s[40:41]
	v_accvgpr_write_b32 a6, v72
	v_accvgpr_write_b32 a7, v73
	v_fma_f64 v[72:73], s[20:21], v[150:151], v[72:73]
	v_add_f64 v[68:69], v[72:73], v[68:69]
	v_mul_f64 v[72:73], v[100:101], s[40:41]
	v_accvgpr_write_b32 a16, v72
	v_accvgpr_write_b32 a17, v73
	v_fma_f64 v[72:73], v[152:153], s[20:21], -v[72:73]
	v_add_f64 v[70:71], v[72:73], v[70:71]
	v_mul_f64 v[72:73], v[218:219], s[46:47]
	v_accvgpr_write_b32 a8, v72
	v_accvgpr_write_b32 a9, v73
	v_fma_f64 v[72:73], s[30:31], v[158:159], v[72:73]
	v_add_f64 v[68:69], v[72:73], v[68:69]
	v_mul_f64 v[72:73], v[216:217], s[46:47]
	v_accvgpr_write_b32 a22, v72
	;; [unrolled: 10-line block ×4, first 2 shown]
	v_accvgpr_write_b32 a29, v73
	v_fma_f64 v[72:73], v[174:175], s[18:19], -v[72:73]
	s_mov_b32 s55, 0x3feca52d
	s_mov_b32 s54, s28
	v_add_f64 v[70:71], v[72:73], v[70:71]
	v_mul_f64 v[72:73], v[254:255], s[54:55]
	v_accvgpr_write_b32 a20, v72
	v_accvgpr_write_b32 a21, v73
	v_fma_f64 v[72:73], s[8:9], v[178:179], v[72:73]
	v_add_f64 v[68:69], v[72:73], v[68:69]
	v_mul_f64 v[72:73], v[250:251], s[54:55]
	v_accvgpr_write_b32 a30, v72
	v_accvgpr_write_b32 a31, v73
	v_fma_f64 v[72:73], v[182:183], s[8:9], -v[72:73]
	s_mov_b32 s53, 0x3fd71e95
	s_mov_b32 s52, s22
	v_add_f64 v[70:71], v[72:73], v[70:71]
	v_mul_f64 v[72:73], v[130:131], s[52:53]
	v_accvgpr_write_b32 a24, v72
	v_accvgpr_write_b32 a25, v73
	v_fma_f64 v[72:73], s[0:1], v[190:191], v[72:73]
	v_add_f64 v[116:117], v[72:73], v[68:69]
	v_mul_f64 v[68:69], v[128:129], s[52:53]
	v_accvgpr_write_b32 a32, v68
	v_accvgpr_write_b32 a33, v69
	v_fma_f64 v[68:69], v[200:201], s[0:1], -v[68:69]
	v_add_f64 v[118:119], v[68:69], v[70:71]
	v_mul_f64 v[68:69], v[92:93], s[28:29]
	v_accvgpr_write_b32 a34, v68
	v_accvgpr_write_b32 a35, v69
	v_fma_f64 v[68:69], s[8:9], v[136:137], v[68:69]
	v_mul_f64 v[226:227], v[94:95], s[40:41]
	v_add_f64 v[68:69], v[0:1], v[68:69]
	v_fma_f64 v[70:71], s[20:21], v[144:145], v[226:227]
	v_mul_f64 v[244:245], v[96:97], s[28:29]
	v_add_f64 v[68:69], v[70:71], v[68:69]
	v_fma_f64 v[70:71], v[138:139], s[8:9], -v[244:245]
	v_mul_f64 v[246:247], v[98:99], s[40:41]
	s_mov_b32 s57, 0x3fc7851a
	s_mov_b32 s56, s46
	v_add_f64 v[70:71], v[2:3], v[70:71]
	v_fma_f64 v[72:73], v[146:147], s[20:21], -v[246:247]
	v_mul_f64 v[228:229], v[102:103], s[56:57]
	v_add_f64 v[70:71], v[72:73], v[70:71]
	v_fma_f64 v[72:73], s[30:31], v[150:151], v[228:229]
	v_mul_f64 v[252:253], v[100:101], s[56:57]
	v_add_f64 v[68:69], v[72:73], v[68:69]
	v_fma_f64 v[72:73], v[152:153], s[30:31], -v[252:253]
	v_mul_f64 v[230:231], v[218:219], s[42:43]
	v_add_f64 v[70:71], v[72:73], v[70:71]
	v_fma_f64 v[72:73], s[18:19], v[158:159], v[230:231]
	v_mul_f64 v[104:105], v[216:217], s[42:43]
	s_mov_b32 s51, 0x3fe58eea
	s_mov_b32 s50, s34
	v_add_f64 v[68:69], v[72:73], v[68:69]
	v_fma_f64 v[72:73], v[160:161], s[18:19], -v[104:105]
	v_mul_f64 v[234:235], v[224:225], s[50:51]
	v_add_f64 v[70:71], v[72:73], v[70:71]
	v_fma_f64 v[72:73], s[10:11], v[162:163], v[234:235]
	v_mul_f64 v[106:107], v[220:221], s[50:51]
	v_add_f64 v[68:69], v[72:73], v[68:69]
	v_fma_f64 v[72:73], v[166:167], s[10:11], -v[106:107]
	v_mul_f64 v[240:241], v[238:239], s[22:23]
	v_add_f64 v[70:71], v[72:73], v[70:71]
	v_fma_f64 v[72:73], s[0:1], v[170:171], v[240:241]
	v_mul_f64 v[108:109], v[232:233], s[22:23]
	;; [unrolled: 6-line block ×5, first 2 shown]
	v_add_f64 v[68:69], v[0:1], v[68:69]
	v_fma_f64 v[70:71], s[30:31], v[144:145], v[140:141]
	v_mul_f64 v[154:155], v[96:97], s[36:37]
	v_add_f64 v[68:69], v[70:71], v[68:69]
	v_fma_f64 v[70:71], v[138:139], s[16:17], -v[154:155]
	v_mul_f64 v[164:165], v[98:99], s[46:47]
	v_add_f64 v[70:71], v[2:3], v[70:71]
	v_fma_f64 v[72:73], v[146:147], s[30:31], -v[164:165]
	v_mul_f64 v[142:143], v[102:103], s[42:43]
	v_add_f64 v[72:73], v[72:73], v[70:71]
	v_fma_f64 v[70:71], s[18:19], v[150:151], v[142:143]
	v_add_f64 v[68:69], v[70:71], v[68:69]
	v_mul_f64 v[70:71], v[100:101], s[42:43]
	v_fma_f64 v[74:75], v[152:153], s[18:19], -v[70:71]
	v_mul_f64 v[148:149], v[218:219], s[52:53]
	v_add_f64 v[72:73], v[74:75], v[72:73]
	v_fma_f64 v[74:75], s[0:1], v[158:159], v[148:149]
	v_mul_f64 v[172:173], v[216:217], s[52:53]
	v_add_f64 v[68:69], v[74:75], v[68:69]
	v_fma_f64 v[74:75], v[160:161], s[0:1], -v[172:173]
	v_mul_f64 v[156:157], v[224:225], s[28:29]
	v_add_f64 v[72:73], v[74:75], v[72:73]
	v_fma_f64 v[74:75], s[8:9], v[162:163], v[156:157]
	v_mul_f64 v[180:181], v[220:221], s[28:29]
	v_add_f64 v[74:75], v[74:75], v[68:69]
	v_fma_f64 v[68:69], v[166:167], s[8:9], -v[180:181]
	v_add_f64 v[72:73], v[68:69], v[72:73]
	v_mul_f64 v[68:69], v[238:239], s[48:49]
	v_fma_f64 v[76:77], s[26:27], v[170:171], v[68:69]
	v_mul_f64 v[184:185], v[232:233], s[48:49]
	s_mov_b32 s59, 0x3fe9895b
	s_mov_b32 s58, s40
	v_add_f64 v[74:75], v[76:77], v[74:75]
	v_fma_f64 v[76:77], v[174:175], s[26:27], -v[184:185]
	v_mul_f64 v[168:169], v[254:255], s[58:59]
	v_add_f64 v[72:73], v[76:77], v[72:73]
	v_fma_f64 v[76:77], s[20:21], v[178:179], v[168:169]
	v_mul_f64 v[186:187], v[250:251], s[58:59]
	v_add_f64 v[74:75], v[76:77], v[74:75]
	v_fma_f64 v[76:77], v[182:183], s[20:21], -v[186:187]
	v_mul_f64 v[176:177], v[130:131], s[50:51]
	v_add_f64 v[72:73], v[76:77], v[72:73]
	v_fma_f64 v[76:77], s[10:11], v[190:191], v[176:177]
	v_mul_f64 v[188:189], v[128:129], s[50:51]
	v_add_f64 v[124:125], v[76:77], v[74:75]
	v_fma_f64 v[74:75], v[200:201], s[10:11], -v[188:189]
	v_add_f64 v[126:127], v[74:75], v[72:73]
	s_barrier
	s_and_saveexec_b64 s[24:25], s[4:5]
	s_cbranch_execz .LBB0_7
; %bb.6:
	v_mul_f64 v[72:73], v[138:139], s[30:31]
	v_fma_f64 v[74:75], s[56:57], v[96:97], v[72:73]
	v_mul_f64 v[76:77], v[146:147], s[0:1]
	v_accvgpr_write_b32 a40, v78
	v_add_f64 v[74:75], v[2:3], v[74:75]
	v_accvgpr_write_b32 a41, v79
	v_fma_f64 v[78:79], s[22:23], v[98:99], v[76:77]
	v_add_f64 v[74:75], v[78:79], v[74:75]
	v_mul_f64 v[78:79], v[152:153], s[26:27]
	v_accvgpr_write_b32 a46, v80
	v_accvgpr_write_b32 a47, v81
	v_fma_f64 v[80:81], s[44:45], v[100:101], v[78:79]
	v_add_f64 v[74:75], v[80:81], v[74:75]
	v_mul_f64 v[80:81], v[160:161], s[10:11]
	v_accvgpr_write_b32 a42, v82
	;; [unrolled: 5-line block ×6, first 2 shown]
	v_accvgpr_write_b32 a60, v192
	v_accvgpr_write_b32 a53, v91
	v_fma_f64 v[90:91], s[30:31], v[136:137], v[88:89]
	v_accvgpr_write_b32 a61, v193
	v_mul_f64 v[192:193], v[94:95], s[52:53]
	v_accvgpr_write_b32 a54, v194
	v_add_f64 v[90:91], v[0:1], v[90:91]
	v_accvgpr_write_b32 a55, v195
	v_fma_f64 v[194:195], s[0:1], v[144:145], v[192:193]
	v_add_f64 v[90:91], v[194:195], v[90:91]
	v_mul_f64 v[194:195], v[102:103], s[48:49]
	v_accvgpr_write_b32 a62, v196
	v_accvgpr_write_b32 a63, v197
	v_fma_f64 v[196:197], s[26:27], v[150:151], v[194:195]
	v_add_f64 v[90:91], v[196:197], v[90:91]
	v_mul_f64 v[196:197], v[218:219], s[50:51]
	v_accvgpr_write_b32 a56, v198
	;; [unrolled: 5-line block ×6, first 2 shown]
	v_accvgpr_write_b32 a1, v209
	v_fma_f64 v[208:209], s[36:37], v[128:129], v[206:207]
	v_accvgpr_write_b32 a74, v228
	s_mov_b32 s61, 0x3fefdd0d
	s_mov_b32 s60, s36
	v_fmac_f64_e32 v[72:73], s[46:47], v[96:97]
	v_accvgpr_write_b32 a75, v229
	v_add_f64 v[228:229], v[208:209], v[74:75]
	v_mul_f64 v[208:209], v[130:131], s[60:61]
	v_fmac_f64_e32 v[76:77], s[52:53], v[98:99]
	v_add_f64 v[72:73], v[2:3], v[72:73]
	v_fma_f64 v[74:75], s[16:17], v[190:191], v[208:209]
	v_accvgpr_write_b32 a76, v226
	v_add_f64 v[72:73], v[76:77], v[72:73]
	v_fma_f64 v[76:77], v[136:137], s[30:31], -v[88:89]
	v_accvgpr_write_b32 a77, v227
	v_add_f64 v[226:227], v[74:75], v[90:91]
	v_fmac_f64_e32 v[78:79], s[48:49], v[100:101]
	v_fma_f64 v[74:75], v[144:145], s[0:1], -v[192:193]
	v_add_f64 v[76:77], v[0:1], v[76:77]
	v_add_f64 v[72:73], v[78:79], v[72:73]
	v_fmac_f64_e32 v[80:81], s[50:51], v[216:217]
	v_add_f64 v[74:75], v[74:75], v[76:77]
	v_fma_f64 v[76:77], v[150:151], s[26:27], -v[194:195]
	v_add_f64 v[72:73], v[80:81], v[72:73]
	v_fmac_f64_e32 v[82:83], s[40:41], v[220:221]
	v_add_f64 v[74:75], v[76:77], v[74:75]
	v_fma_f64 v[76:77], v[158:159], s[10:11], -v[196:197]
	;; [unrolled: 4-line block ×4, first 2 shown]
	v_accvgpr_write_b32 a36, v226
	v_add_f64 v[72:73], v[86:87], v[72:73]
	v_add_f64 v[74:75], v[76:77], v[74:75]
	v_fma_f64 v[76:77], v[178:179], s[18:19], -v[204:205]
	v_fmac_f64_e32 v[206:207], s[60:61], v[128:129]
	v_accvgpr_write_b32 a37, v227
	v_accvgpr_write_b32 a38, v228
	v_accvgpr_write_b32 a39, v229
	v_add_f64 v[76:77], v[76:77], v[74:75]
	v_add_f64 v[228:229], v[206:207], v[72:73]
	v_fma_f64 v[72:73], v[190:191], s[16:17], -v[208:209]
	v_mul_f64 v[80:81], v[138:139], s[26:27]
	v_add_f64 v[226:227], v[72:73], v[76:77]
	v_fma_f64 v[76:77], s[44:45], v[96:97], v[80:81]
	v_mul_f64 v[82:83], v[146:147], s[8:9]
	v_add_f64 v[76:77], v[2:3], v[76:77]
	v_fma_f64 v[78:79], s[28:29], v[98:99], v[82:83]
	;; [unrolled: 3-line block ×9, first 2 shown]
	v_add_f64 v[78:79], v[198:199], v[78:79]
	v_mul_f64 v[198:199], v[102:103], s[36:37]
	v_fma_f64 v[202:203], s[16:17], v[150:151], v[198:199]
	v_add_f64 v[78:79], v[202:203], v[78:79]
	v_mul_f64 v[202:203], v[218:219], s[58:59]
	v_fma_f64 v[204:205], s[20:21], v[158:159], v[202:203]
	;; [unrolled: 3-line block ×5, first 2 shown]
	v_mul_f64 v[74:75], v[200:201], s[18:19]
	v_accvgpr_write_b32 a72, v210
	v_add_f64 v[72:73], v[72:73], v[78:79]
	v_fma_f64 v[78:79], s[42:43], v[128:129], v[74:75]
	v_accvgpr_write_b32 a73, v211
	v_mul_f64 v[210:211], v[130:131], s[38:39]
	v_add_f64 v[78:79], v[78:79], v[76:77]
	v_fma_f64 v[76:77], s[18:19], v[190:191], v[210:211]
	v_fmac_f64_e32 v[80:81], s[48:49], v[96:97]
	v_add_f64 v[76:77], v[76:77], v[72:73]
	v_fmac_f64_e32 v[82:83], s[54:55], v[98:99]
	v_add_f64 v[72:73], v[2:3], v[80:81]
	v_add_f64 v[72:73], v[82:83], v[72:73]
	v_fma_f64 v[82:83], v[136:137], s[26:27], -v[194:195]
	v_fmac_f64_e32 v[84:85], s[36:37], v[100:101]
	v_fma_f64 v[80:81], v[144:145], s[8:9], -v[196:197]
	v_add_f64 v[82:83], v[0:1], v[82:83]
	v_add_f64 v[72:73], v[84:85], v[72:73]
	v_fmac_f64_e32 v[86:87], s[58:59], v[216:217]
	v_add_f64 v[80:81], v[80:81], v[82:83]
	v_fma_f64 v[82:83], v[150:151], s[16:17], -v[198:199]
	v_add_f64 v[72:73], v[86:87], v[72:73]
	v_fmac_f64_e32 v[88:89], s[22:23], v[220:221]
	v_add_f64 v[80:81], v[82:83], v[80:81]
	v_fma_f64 v[82:83], v[158:159], s[20:21], -v[202:203]
	;; [unrolled: 4-line block ×4, first 2 shown]
	v_add_f64 v[72:73], v[192:193], v[72:73]
	v_add_f64 v[80:81], v[82:83], v[80:81]
	v_fma_f64 v[82:83], v[178:179], s[10:11], -v[208:209]
	v_fmac_f64_e32 v[74:75], s[38:39], v[128:129]
	v_add_f64 v[80:81], v[82:83], v[80:81]
	v_add_f64 v[82:83], v[74:75], v[72:73]
	v_fma_f64 v[72:73], v[190:191], s[18:19], -v[210:211]
	v_add_f64 v[80:81], v[72:73], v[80:81]
	v_mul_f64 v[72:73], v[138:139], s[20:21]
	v_fma_f64 v[74:75], s[58:59], v[96:97], v[72:73]
	v_mul_f64 v[88:89], v[146:147], s[18:19]
	v_add_f64 v[74:75], v[2:3], v[74:75]
	v_fma_f64 v[84:85], s[38:39], v[98:99], v[88:89]
	v_mul_f64 v[90:91], v[152:153], s[0:1]
	v_add_f64 v[74:75], v[84:85], v[74:75]
	;; [unrolled: 3-line block ×10, first 2 shown]
	v_fma_f64 v[86:87], s[26:27], v[158:159], v[208:209]
	v_mul_f64 v[210:211], v[224:225], s[60:61]
	v_accvgpr_write_b32 a78, v212
	v_add_f64 v[84:85], v[86:87], v[84:85]
	v_fma_f64 v[86:87], s[16:17], v[162:163], v[210:211]
	v_accvgpr_write_b32 a79, v213
	v_mul_f64 v[212:213], v[238:239], s[34:35]
	v_accvgpr_write_b32 a80, v214
	v_add_f64 v[84:85], v[86:87], v[84:85]
	v_fma_f64 v[86:87], s[10:11], v[170:171], v[212:213]
	v_accvgpr_write_b32 a81, v215
	v_mul_f64 v[214:215], v[254:255], s[46:47]
	v_add_f64 v[84:85], v[86:87], v[84:85]
	v_fma_f64 v[86:87], s[30:31], v[178:179], v[214:215]
	v_accvgpr_write_b32 a2, v222
	v_mul_f64 v[222:223], v[200:201], s[8:9]
	v_add_f64 v[84:85], v[86:87], v[84:85]
	v_fma_f64 v[86:87], s[28:29], v[128:129], v[222:223]
	v_accvgpr_write_b32 a68, v76
	v_add_f64 v[86:87], v[86:87], v[74:75]
	v_mul_f64 v[74:75], v[130:131], s[54:55]
	v_fmac_f64_e32 v[72:73], s[40:41], v[96:97]
	v_accvgpr_write_b32 a69, v77
	v_accvgpr_write_b32 a70, v78
	;; [unrolled: 1-line block ×3, first 2 shown]
	v_fma_f64 v[76:77], s[8:9], v[190:191], v[74:75]
	v_fmac_f64_e32 v[88:89], s[42:43], v[98:99]
	v_add_f64 v[72:73], v[2:3], v[72:73]
	v_fma_f64 v[78:79], v[136:137], s[20:21], -v[202:203]
	v_add_f64 v[84:85], v[76:77], v[84:85]
	v_add_f64 v[72:73], v[88:89], v[72:73]
	v_fmac_f64_e32 v[90:91], s[22:23], v[100:101]
	v_fma_f64 v[76:77], v[144:145], s[18:19], -v[204:205]
	v_add_f64 v[78:79], v[0:1], v[78:79]
	v_add_f64 v[72:73], v[90:91], v[72:73]
	v_fmac_f64_e32 v[192:193], s[48:49], v[216:217]
	v_add_f64 v[76:77], v[76:77], v[78:79]
	v_fma_f64 v[78:79], v[150:151], s[0:1], -v[206:207]
	v_add_f64 v[72:73], v[192:193], v[72:73]
	v_fmac_f64_e32 v[194:195], s[60:61], v[220:221]
	v_add_f64 v[76:77], v[78:79], v[76:77]
	v_fma_f64 v[78:79], v[158:159], s[26:27], -v[208:209]
	;; [unrolled: 4-line block ×4, first 2 shown]
	v_add_f64 v[72:73], v[198:199], v[72:73]
	v_add_f64 v[76:77], v[78:79], v[76:77]
	v_fma_f64 v[78:79], v[178:179], s[30:31], -v[214:215]
	v_fmac_f64_e32 v[222:223], s[54:55], v[128:129]
	v_add_f64 v[76:77], v[78:79], v[76:77]
	v_add_f64 v[90:91], v[222:223], v[72:73]
	v_fma_f64 v[72:73], v[190:191], s[8:9], -v[74:75]
	v_add_f64 v[88:89], v[72:73], v[76:77]
	v_mul_f64 v[72:73], v[138:139], s[18:19]
	v_fma_f64 v[74:75], s[42:43], v[96:97], v[72:73]
	v_mul_f64 v[76:77], v[146:147], s[26:27]
	v_add_f64 v[74:75], v[2:3], v[74:75]
	v_fma_f64 v[78:79], s[48:49], v[98:99], v[76:77]
	v_add_f64 v[74:75], v[78:79], v[74:75]
	v_mul_f64 v[78:79], v[152:153], s[10:11]
	v_fma_f64 v[192:193], s[34:35], v[100:101], v[78:79]
	v_add_f64 v[74:75], v[192:193], v[74:75]
	v_mul_f64 v[192:193], v[160:161], s[8:9]
	;; [unrolled: 3-line block ×5, first 2 shown]
	v_fma_f64 v[202:203], s[52:53], v[250:251], v[198:199]
	v_mul_f64 v[204:205], v[92:93], s[38:39]
	v_add_f64 v[74:75], v[202:203], v[74:75]
	v_mul_f64 v[202:203], v[94:95], s[44:45]
	v_fma_f64 v[92:93], s[18:19], v[136:137], v[204:205]
	v_add_f64 v[92:93], v[0:1], v[92:93]
	v_fma_f64 v[94:95], s[26:27], v[144:145], v[202:203]
	v_mul_f64 v[102:103], v[102:103], s[50:51]
	v_fmac_f64_e32 v[72:73], s[38:39], v[96:97]
	v_add_f64 v[92:93], v[94:95], v[92:93]
	v_fma_f64 v[94:95], s[10:11], v[150:151], v[102:103]
	v_mul_f64 v[206:207], v[218:219], s[28:29]
	v_fmac_f64_e32 v[76:77], s[44:45], v[98:99]
	v_add_f64 v[72:73], v[2:3], v[72:73]
	v_add_f64 v[92:93], v[94:95], v[92:93]
	v_fma_f64 v[94:95], s[8:9], v[158:159], v[206:207]
	v_mul_f64 v[208:209], v[224:225], s[46:47]
	v_fmac_f64_e32 v[78:79], s[50:51], v[100:101]
	v_add_f64 v[72:73], v[76:77], v[72:73]
	v_add_f64 v[92:93], v[94:95], v[92:93]
	v_fma_f64 v[94:95], s[30:31], v[162:163], v[208:209]
	v_mul_f64 v[210:211], v[238:239], s[60:61]
	v_add_f64 v[72:73], v[78:79], v[72:73]
	v_fma_f64 v[78:79], v[136:137], s[18:19], -v[204:205]
	v_add_f64 v[92:93], v[94:95], v[92:93]
	v_fma_f64 v[94:95], s[16:17], v[170:171], v[210:211]
	v_mul_f64 v[212:213], v[254:255], s[22:23]
	v_fma_f64 v[76:77], v[144:145], s[26:27], -v[202:203]
	v_add_f64 v[78:79], v[0:1], v[78:79]
	v_add_f64 v[92:93], v[94:95], v[92:93]
	v_fma_f64 v[94:95], s[0:1], v[178:179], v[212:213]
	v_mul_f64 v[214:215], v[200:201], s[20:21]
	v_add_f64 v[76:77], v[76:77], v[78:79]
	v_fma_f64 v[78:79], v[150:151], s[10:11], -v[102:103]
	v_add_f64 v[92:93], v[94:95], v[92:93]
	v_fma_f64 v[94:95], s[58:59], v[128:129], v[214:215]
	v_fmac_f64_e32 v[214:215], s[40:41], v[128:129]
	v_add_f64 v[76:77], v[78:79], v[76:77]
	v_fma_f64 v[78:79], v[158:159], s[8:9], -v[206:207]
	v_mul_f64 v[102:103], v[152:153], s[18:19]
	v_mul_f64 v[128:129], v[138:139], s[16:17]
	v_add_f64 v[94:95], v[94:95], v[74:75]
	v_mul_f64 v[74:75], v[130:131], s[40:41]
	v_fmac_f64_e32 v[192:193], s[28:29], v[216:217]
	v_add_f64 v[76:77], v[78:79], v[76:77]
	v_fma_f64 v[78:79], v[162:163], s[30:31], -v[208:209]
	v_add_f64 v[70:71], v[70:71], v[102:103]
	v_mul_f64 v[102:103], v[146:147], s[30:31]
	v_add_f64 v[128:129], v[154:155], v[128:129]
	v_fma_f64 v[130:131], s[20:21], v[190:191], v[74:75]
	v_fmac_f64_e32 v[194:195], s[46:47], v[220:221]
	v_add_f64 v[72:73], v[192:193], v[72:73]
	v_add_f64 v[76:77], v[78:79], v[76:77]
	v_fma_f64 v[78:79], v[170:171], s[16:17], -v[210:211]
	v_add_f64 v[102:103], v[164:165], v[102:103]
	v_add_f64 v[128:129], v[2:3], v[128:129]
	;; [unrolled: 1-line block ×3, first 2 shown]
	v_fmac_f64_e32 v[196:197], s[60:61], v[232:233]
	v_add_f64 v[72:73], v[194:195], v[72:73]
	v_add_f64 v[76:77], v[78:79], v[76:77]
	v_fma_f64 v[78:79], v[178:179], s[0:1], -v[212:213]
	v_mul_f64 v[100:101], v[160:161], s[0:1]
	v_add_f64 v[102:103], v[102:103], v[128:129]
	v_mul_f64 v[130:131], v[136:137], s[16:17]
	v_fmac_f64_e32 v[198:199], s[22:23], v[250:251]
	v_add_f64 v[72:73], v[196:197], v[72:73]
	v_add_f64 v[76:77], v[78:79], v[76:77]
	v_mul_f64 v[78:79], v[166:167], s[8:9]
	v_add_f64 v[100:101], v[172:173], v[100:101]
	v_add_f64 v[70:71], v[70:71], v[102:103]
	v_mul_f64 v[128:129], v[144:145], s[30:31]
	v_add_f64 v[130:131], v[130:131], -v[134:135]
	v_add_f64 v[72:73], v[198:199], v[72:73]
	v_add_f64 v[78:79], v[180:181], v[78:79]
	;; [unrolled: 1-line block ×3, first 2 shown]
	v_mul_f64 v[102:103], v[150:151], s[18:19]
	v_add_f64 v[128:129], v[128:129], -v[140:141]
	v_add_f64 v[130:131], v[0:1], v[130:131]
	v_add_f64 v[98:99], v[214:215], v[72:73]
	v_fma_f64 v[72:73], v[190:191], s[20:21], -v[74:75]
	v_add_f64 v[70:71], v[78:79], v[70:71]
	v_mul_f64 v[78:79], v[170:171], s[26:27]
	v_mul_f64 v[100:101], v[158:159], s[0:1]
	v_add_f64 v[102:103], v[102:103], -v[142:143]
	v_add_f64 v[128:129], v[128:129], v[130:131]
	v_add_f64 v[96:97], v[72:73], v[76:77]
	v_mul_f64 v[76:77], v[174:175], s[26:27]
	v_add_f64 v[68:69], v[78:79], -v[68:69]
	v_mul_f64 v[78:79], v[162:163], s[8:9]
	v_add_f64 v[100:101], v[100:101], -v[148:149]
	v_add_f64 v[102:103], v[102:103], v[128:129]
	v_mul_f64 v[74:75], v[182:183], s[20:21]
	v_add_f64 v[76:77], v[184:185], v[76:77]
	v_add_f64 v[78:79], v[78:79], -v[156:157]
	v_add_f64 v[100:101], v[100:101], v[102:103]
	v_add_f64 v[74:75], v[186:187], v[74:75]
	;; [unrolled: 1-line block ×3, first 2 shown]
	v_mul_f64 v[76:77], v[178:179], s[20:21]
	v_add_f64 v[78:79], v[78:79], v[100:101]
	v_add_f64 v[70:71], v[74:75], v[70:71]
	v_mul_f64 v[74:75], v[190:191], s[10:11]
	v_add_f64 v[76:77], v[76:77], -v[168:169]
	v_add_f64 v[68:69], v[68:69], v[78:79]
	v_add_f64 v[74:75], v[74:75], -v[176:177]
	v_add_f64 v[68:69], v[76:77], v[68:69]
	v_add_f64 v[100:101], v[74:75], v[68:69]
	v_mul_f64 v[74:75], v[166:167], s[10:11]
	v_add_f64 v[74:75], v[106:107], v[74:75]
	v_mul_f64 v[76:77], v[160:161], s[18:19]
	v_mul_f64 v[106:107], v[138:139], s[8:9]
	v_add_f64 v[76:77], v[104:105], v[76:77]
	v_mul_f64 v[104:105], v[146:147], s[20:21]
	v_add_f64 v[106:107], v[244:245], v[106:107]
	;; [unrolled: 2-line block ×3, first 2 shown]
	v_add_f64 v[106:107], v[2:3], v[106:107]
	v_mul_f64 v[72:73], v[200:201], s[10:11]
	v_add_f64 v[78:79], v[252:253], v[78:79]
	v_add_f64 v[104:105], v[104:105], v[106:107]
	;; [unrolled: 1-line block ×5, first 2 shown]
	v_mul_f64 v[72:73], v[174:175], s[0:1]
	v_add_f64 v[76:77], v[76:77], v[78:79]
	v_mul_f64 v[68:69], v[200:201], s[26:27]
	v_add_f64 v[72:73], v[108:109], v[72:73]
	v_add_f64 v[74:75], v[74:75], v[76:77]
	;; [unrolled: 1-line block ×3, first 2 shown]
	v_mul_f64 v[78:79], v[144:145], s[10:11]
	v_mul_f64 v[76:77], v[146:147], s[10:11]
	v_add_f64 v[72:73], v[72:73], v[74:75]
	v_mul_f64 v[74:75], v[144:145], s[16:17]
	v_mul_f64 v[130:131], v[146:147], s[16:17]
	v_mul_f64 v[132:133], v[144:145], s[20:21]
	v_accvgpr_read_b32 v145, a75
	v_accvgpr_read_b32 v147, a77
	v_mul_f64 v[142:143], v[150:151], s[30:31]
	v_accvgpr_read_b32 v144, a74
	v_accvgpr_read_b32 v146, a76
	v_add_f64 v[142:143], v[142:143], -v[144:145]
	v_mul_f64 v[144:145], v[150:151], s[8:9]
	v_add_f64 v[132:133], v[132:133], -v[146:147]
	v_mul_f64 v[146:147], v[152:153], s[8:9]
	v_mul_f64 v[148:149], v[150:151], s[20:21]
	;; [unrolled: 1-line block ×3, first 2 shown]
	v_accvgpr_read_b32 v153, a35
	v_mul_f64 v[128:129], v[136:137], s[8:9]
	v_accvgpr_read_b32 v152, a34
	v_add_f64 v[128:129], v[128:129], -v[152:153]
	v_add_f64 v[128:129], v[0:1], v[128:129]
	v_mul_f64 v[140:141], v[158:159], s[18:19]
	v_add_f64 v[128:129], v[132:133], v[128:129]
	v_add_f64 v[140:141], v[140:141], -v[230:231]
	v_add_f64 v[128:129], v[142:143], v[128:129]
	v_accvgpr_read_b32 v177, a31
	v_mul_f64 v[132:133], v[160:161], s[16:17]
	v_mul_f64 v[156:157], v[160:161], s[30:31]
	v_add_f64 v[128:129], v[140:141], v[128:129]
	v_mul_f64 v[140:141], v[166:167], s[18:19]
	v_mul_f64 v[160:161], v[166:167], s[26:27]
	;; [unrolled: 1-line block ×3, first 2 shown]
	v_accvgpr_read_b32 v176, a30
	v_add_f64 v[166:167], v[176:177], v[166:167]
	v_accvgpr_read_b32 v177, a29
	v_mul_f64 v[164:165], v[174:175], s[18:19]
	v_accvgpr_read_b32 v176, a28
	v_add_f64 v[164:165], v[176:177], v[164:165]
	v_accvgpr_read_b32 v177, a27
	v_accvgpr_read_b32 v176, a26
	v_add_f64 v[160:161], v[176:177], v[160:161]
	v_accvgpr_read_b32 v177, a23
	;; [unrolled: 3-line block ×5, first 2 shown]
	v_mul_f64 v[106:107], v[138:139], s[10:11]
	v_accvgpr_read_b32 v176, a10
	v_add_f64 v[106:107], v[176:177], v[106:107]
	v_add_f64 v[106:107], v[2:3], v[106:107]
	;; [unrolled: 1-line block ×5, first 2 shown]
	v_accvgpr_read_b32 v157, a15
	v_mul_f64 v[152:153], v[158:159], s[16:17]
	v_mul_f64 v[154:155], v[158:159], s[30:31]
	;; [unrolled: 1-line block ×3, first 2 shown]
	v_accvgpr_read_b32 v156, a14
	v_add_f64 v[156:157], v[158:159], -v[156:157]
	v_accvgpr_read_b32 v159, a9
	v_accvgpr_read_b32 v158, a8
	v_add_f64 v[154:155], v[154:155], -v[158:159]
	v_accvgpr_read_b32 v159, a7
	v_accvgpr_read_b32 v158, a6
	v_mul_f64 v[70:71], v[182:183], s[16:17]
	v_add_f64 v[148:149], v[148:149], -v[158:159]
	v_accvgpr_read_b32 v159, a5
	v_add_f64 v[70:71], v[110:111], v[70:71]
	v_mul_f64 v[110:111], v[138:139], s[0:1]
	v_mul_f64 v[138:139], v[162:163], s[10:11]
	v_accvgpr_read_b32 v158, a4
	v_mul_f64 v[108:109], v[136:137], s[0:1]
	v_mul_f64 v[104:105], v[136:137], s[10:11]
	;; [unrolled: 1-line block ×3, first 2 shown]
	v_add_f64 v[138:139], v[138:139], -v[234:235]
	v_add_f64 v[74:75], v[74:75], -v[158:159]
	v_accvgpr_read_b32 v159, a81
	v_mul_f64 v[134:135], v[178:179], s[16:17]
	v_add_f64 v[136:137], v[136:137], -v[240:241]
	v_add_f64 v[128:129], v[138:139], v[128:129]
	v_accvgpr_read_b32 v158, a80
	v_add_f64 v[70:71], v[70:71], v[72:73]
	v_mul_f64 v[72:73], v[190:191], s[26:27]
	v_add_f64 v[134:135], v[134:135], -v[242:243]
	v_add_f64 v[128:129], v[136:137], v[128:129]
	v_add_f64 v[104:105], v[104:105], -v[158:159]
	v_add_f64 v[72:73], v[72:73], -v[248:249]
	v_add_f64 v[128:129], v[134:135], v[128:129]
	v_accvgpr_read_b32 v151, a21
	v_add_f64 v[104:105], v[0:1], v[104:105]
	v_add_f64 v[70:71], v[68:69], v[70:71]
	;; [unrolled: 1-line block ×3, first 2 shown]
	v_mul_f64 v[128:129], v[178:179], s[8:9]
	v_accvgpr_read_b32 v150, a20
	v_add_f64 v[74:75], v[74:75], v[104:105]
	v_add_f64 v[128:129], v[128:129], -v[150:151]
	v_accvgpr_read_b32 v151, a19
	v_add_f64 v[74:75], v[148:149], v[74:75]
	v_mul_f64 v[142:143], v[162:163], s[18:19]
	v_mul_f64 v[162:163], v[170:171], s[18:19]
	v_accvgpr_read_b32 v150, a18
	v_add_f64 v[74:75], v[154:155], v[74:75]
	v_accvgpr_read_b32 v131, a25
	v_add_f64 v[150:151], v[162:163], -v[150:151]
	v_add_f64 v[74:75], v[156:157], v[74:75]
	v_mul_f64 v[136:137], v[174:175], s[20:21]
	v_mul_f64 v[174:175], v[190:191], s[0:1]
	v_accvgpr_read_b32 v130, a24
	v_add_f64 v[74:75], v[150:151], v[74:75]
	v_add_f64 v[130:131], v[174:175], -v[130:131]
	v_add_f64 v[74:75], v[128:129], v[74:75]
	v_add_f64 v[104:105], v[130:131], v[74:75]
	v_accvgpr_read_b32 v129, a67
	v_accvgpr_read_b32 v131, a63
	v_mul_f64 v[72:73], v[182:183], s[26:27]
	v_accvgpr_read_b32 v128, a66
	v_accvgpr_read_b32 v130, a62
	v_add_f64 v[72:73], v[128:129], v[72:73]
	v_accvgpr_read_b32 v129, a65
	v_add_f64 v[130:131], v[130:131], v[140:141]
	v_accvgpr_read_b32 v141, a49
	v_accvgpr_read_b32 v128, a64
	v_accvgpr_read_b32 v140, a48
	v_add_f64 v[128:129], v[128:129], v[136:137]
	v_accvgpr_read_b32 v137, a61
	v_add_f64 v[76:77], v[140:141], v[76:77]
	v_accvgpr_read_b32 v141, a47
	;; [unrolled: 6-line block ×3, first 2 shown]
	v_add_f64 v[110:111], v[2:3], v[110:111]
	v_add_f64 v[136:137], v[136:137], v[146:147]
	;; [unrolled: 1-line block ×5, first 2 shown]
	v_accvgpr_read_b32 v74, a78
	v_add_f64 v[76:77], v[130:131], v[76:77]
	v_mul_f64 v[172:173], v[200:201], s[30:31]
	v_accvgpr_read_b32 v75, a79
	v_add_f64 v[76:77], v[128:129], v[76:77]
	v_add_f64 v[74:75], v[74:75], v[172:173]
	;; [unrolled: 1-line block ×4, first 2 shown]
	v_accvgpr_read_b32 v75, a59
	v_mul_f64 v[134:135], v[178:179], s[26:27]
	v_accvgpr_read_b32 v74, a58
	v_add_f64 v[74:75], v[134:135], -v[74:75]
	v_accvgpr_read_b32 v135, a43
	v_accvgpr_read_b32 v134, a42
	v_add_f64 v[78:79], v[78:79], -v[134:135]
	v_accvgpr_read_b32 v135, a41
	v_accvgpr_read_b32 v134, a40
	v_add_f64 v[108:109], v[108:109], -v[134:135]
	v_add_f64 v[108:109], v[0:1], v[108:109]
	v_add_f64 v[2:3], v[2:3], v[6:7]
	v_add_f64 v[0:1], v[0:1], v[4:5]
	v_add_f64 v[2:3], v[2:3], v[10:11]
	v_add_f64 v[0:1], v[0:1], v[8:9]
	v_add_f64 v[2:3], v[2:3], v[14:15]
	v_add_f64 v[0:1], v[0:1], v[12:13]
	v_add_f64 v[2:3], v[2:3], v[18:19]
	v_add_f64 v[0:1], v[0:1], v[16:17]
	v_add_f64 v[2:3], v[2:3], v[22:23]
	v_add_f64 v[0:1], v[0:1], v[20:21]
	v_add_f64 v[2:3], v[2:3], v[26:27]
	v_add_f64 v[0:1], v[0:1], v[24:25]
	v_add_f64 v[2:3], v[2:3], v[30:31]
	v_add_f64 v[0:1], v[0:1], v[28:29]
	v_add_f64 v[2:3], v[2:3], v[34:35]
	v_add_f64 v[0:1], v[0:1], v[32:33]
	v_accvgpr_read_b32 v133, a45
	v_add_f64 v[2:3], v[2:3], v[38:39]
	v_add_f64 v[0:1], v[0:1], v[36:37]
	v_accvgpr_read_b32 v131, a53
	v_accvgpr_read_b32 v132, a44
	v_add_f64 v[2:3], v[2:3], v[42:43]
	v_add_f64 v[0:1], v[0:1], v[40:41]
	v_accvgpr_read_b32 v129, a55
	v_accvgpr_read_b32 v130, a52
	v_add_f64 v[132:133], v[144:145], -v[132:133]
	v_add_f64 v[78:79], v[78:79], v[108:109]
	v_add_f64 v[2:3], v[2:3], v[46:47]
	;; [unrolled: 1-line block ×3, first 2 shown]
	v_accvgpr_read_b32 v77, a57
	v_accvgpr_read_b32 v128, a54
	v_add_f64 v[130:131], v[152:153], -v[130:131]
	v_add_f64 v[78:79], v[132:133], v[78:79]
	v_add_f64 v[2:3], v[2:3], v[50:51]
	;; [unrolled: 1-line block ×3, first 2 shown]
	v_accvgpr_read_b32 v209, a1
	v_mul_f64 v[138:139], v[170:171], s[20:21]
	v_accvgpr_read_b32 v171, a33
	v_accvgpr_read_b32 v76, a56
	v_add_f64 v[128:129], v[142:143], -v[128:129]
	v_add_f64 v[78:79], v[130:131], v[78:79]
	v_add_f64 v[2:3], v[2:3], v[54:55]
	;; [unrolled: 1-line block ×3, first 2 shown]
	v_accvgpr_read_b32 v208, a0
	v_mul_f64 v[168:169], v[200:201], s[0:1]
	v_accvgpr_read_b32 v170, a32
	v_add_f64 v[106:107], v[160:161], v[106:107]
	v_accvgpr_read_b32 v72, a72
	v_add_f64 v[76:77], v[138:139], -v[76:77]
	v_add_f64 v[78:79], v[128:129], v[78:79]
	v_add_f64 v[2:3], v[2:3], v[58:59]
	;; [unrolled: 1-line block ×4, first 2 shown]
	v_mul_f64 v[170:171], v[190:191], s[30:31]
	v_add_f64 v[106:107], v[164:165], v[106:107]
	v_accvgpr_read_b32 v73, a73
	v_add_f64 v[76:77], v[76:77], v[78:79]
	v_add_f64 v[2:3], v[2:3], v[62:63]
	;; [unrolled: 1-line block ×3, first 2 shown]
	v_mul_lo_u16_e32 v4, 17, v208
	v_accvgpr_read_b32 v222, a2
	v_add_f64 v[106:107], v[166:167], v[106:107]
	v_add_f64 v[72:73], v[170:171], -v[72:73]
	v_add_f64 v[74:75], v[74:75], v[76:77]
	v_add_f64 v[2:3], v[2:3], v[66:67]
	;; [unrolled: 1-line block ×3, first 2 shown]
	v_lshlrev_b32_e32 v4, 4, v4
	v_add_f64 v[106:107], v[168:169], v[106:107]
	v_add_f64 v[108:109], v[72:73], v[74:75]
	ds_write_b128 v4, v[0:3]
	ds_write_b128 v4, v[108:111] offset:16
	ds_write_b128 v4, v[104:107] offset:32
	;; [unrolled: 1-line block ×16, first 2 shown]
.LBB0_7:
	s_or_b64 exec, exec, s[24:25]
	s_movk_i32 s0, 0xf1
	v_mul_lo_u16_sdwa v0, v208, s0 dst_sel:DWORD dst_unused:UNUSED_PAD src0_sel:BYTE_0 src1_sel:DWORD
	v_lshrrev_b16_e32 v82, 12, v0
	v_mul_lo_u16_e32 v0, 17, v82
	v_sub_u16_e32 v0, v208, v0
	v_and_b32_e32 v83, 0xff, v0
	v_mul_u32_u24_e32 v0, 12, v83
	v_lshlrev_b32_e32 v0, 4, v0
	s_load_dwordx4 s[8:11], s[2:3], 0x0
	s_waitcnt lgkmcnt(0)
	s_barrier
	global_load_dwordx4 v[20:23], v0, s[6:7]
	global_load_dwordx4 v[16:19], v0, s[6:7] offset:16
	global_load_dwordx4 v[54:57], v0, s[6:7] offset:32
	;; [unrolled: 1-line block ×11, first 2 shown]
	ds_read_b128 v[84:87], v236
	ds_read_b128 v[0:3], v236 offset:2448
	ds_read_b128 v[8:11], v236 offset:4896
	;; [unrolled: 1-line block ×12, first 2 shown]
	s_mov_b32 s28, 0x42a4c3d2
	s_mov_b32 s38, 0x66966769
	;; [unrolled: 1-line block ×30, first 2 shown]
	s_waitcnt lgkmcnt(0)
	s_barrier
	s_waitcnt lgkmcnt(0)
                                        ; implicit-def: $vgpr180_vgpr181
	s_waitcnt vmcnt(11)
	v_mul_f64 v[80:81], v[2:3], v[22:23]
	s_waitcnt vmcnt(10)
	v_mul_f64 v[138:139], v[10:11], v[18:19]
	v_fma_f64 v[166:167], v[0:1], v[20:21], -v[80:81]
	v_mul_f64 v[136:137], v[0:1], v[22:23]
	s_waitcnt vmcnt(9)
	v_mul_f64 v[142:143], v[30:31], v[56:57]
	v_fma_f64 v[138:139], v[8:9], v[16:17], -v[138:139]
	v_add_f64 v[0:1], v[84:85], v[166:167]
	v_mul_f64 v[140:141], v[8:9], v[18:19]
	s_waitcnt vmcnt(8)
	v_mul_f64 v[144:145], v[42:43], v[50:51]
	v_fmac_f64_e32 v[136:137], v[2:3], v[20:21]
	v_fma_f64 v[80:81], v[28:29], v[54:55], -v[142:143]
	v_add_f64 v[0:1], v[0:1], v[138:139]
	v_mul_f64 v[44:45], v[28:29], v[56:57]
	v_mul_f64 v[36:37], v[40:41], v[50:51]
	s_waitcnt vmcnt(7)
	v_mul_f64 v[146:147], v[90:91], v[62:63]
	v_fmac_f64_e32 v[140:141], v[10:11], v[16:17]
	v_fma_f64 v[40:41], v[40:41], v[48:49], -v[144:145]
	v_add_f64 v[2:3], v[86:87], v[136:137]
	v_add_f64 v[0:1], v[0:1], v[80:81]
	s_waitcnt vmcnt(6)
	v_mul_f64 v[148:149], v[94:95], v[170:171]
	v_fmac_f64_e32 v[44:45], v[30:31], v[54:55]
	v_fma_f64 v[28:29], v[88:89], v[60:61], -v[146:147]
	v_add_f64 v[2:3], v[2:3], v[140:141]
	v_add_f64 v[0:1], v[0:1], v[40:41]
	v_mul_f64 v[12:13], v[88:89], v[62:63]
	s_waitcnt vmcnt(5)
	v_mul_f64 v[150:151], v[98:99], v[34:35]
	v_fmac_f64_e32 v[36:37], v[42:43], v[48:49]
	v_fma_f64 v[8:9], v[92:93], v[168:169], -v[148:149]
	v_add_f64 v[2:3], v[2:3], v[44:45]
	v_add_f64 v[0:1], v[0:1], v[28:29]
	v_mul_f64 v[4:5], v[92:93], v[170:171]
	;; [unrolled: 7-line block ×6, first 2 shown]
	s_waitcnt vmcnt(0)
	v_mul_f64 v[162:163], v[134:135], v[66:67]
	v_mul_f64 v[164:165], v[132:133], v[66:67]
	v_fmac_f64_e32 v[38:39], v[106:107], v[76:77]
	v_fma_f64 v[90:91], v[128:129], v[68:69], -v[158:159]
	v_add_f64 v[2:3], v[2:3], v[14:15]
	v_add_f64 v[0:1], v[0:1], v[88:89]
	v_mul_f64 v[160:161], v[128:129], v[70:71]
	v_fmac_f64_e32 v[46:47], v[110:111], v[72:73]
	v_fma_f64 v[92:93], v[132:133], v[64:65], -v[162:163]
	v_fmac_f64_e32 v[164:165], v[134:135], v[64:65]
	v_add_f64 v[2:3], v[2:3], v[38:39]
	v_add_f64 v[0:1], v[0:1], v[90:91]
	v_fmac_f64_e32 v[160:161], v[130:131], v[68:69]
	v_add_f64 v[2:3], v[2:3], v[46:47]
	v_add_f64 v[0:1], v[0:1], v[92:93]
	;; [unrolled: 1-line block ×3, first 2 shown]
	v_add_f64 v[92:93], v[166:167], -v[92:93]
	v_add_f64 v[98:99], v[136:137], -v[164:165]
	v_add_f64 v[2:3], v[2:3], v[160:161]
	v_add_f64 v[96:97], v[136:137], v[164:165]
	v_mul_f64 v[100:101], v[98:99], s[18:19]
	v_mul_f64 v[104:105], v[92:93], s[18:19]
	;; [unrolled: 1-line block ×12, first 2 shown]
	v_add_f64 v[2:3], v[2:3], v[164:165]
	v_fma_f64 v[102:103], v[94:95], s[16:17], -v[100:101]
	v_fma_f64 v[106:107], s[16:17], v[96:97], v[104:105]
	v_fmac_f64_e32 v[100:101], s[16:17], v[94:95]
	v_fma_f64 v[104:105], v[96:97], s[16:17], -v[104:105]
	v_fma_f64 v[110:111], v[94:95], s[2:3], -v[108:109]
	v_fma_f64 v[130:131], s[2:3], v[96:97], v[128:129]
	v_fmac_f64_e32 v[108:109], s[2:3], v[94:95]
	v_fma_f64 v[128:129], v[96:97], s[2:3], -v[128:129]
	;; [unrolled: 4-line block ×6, first 2 shown]
	v_add_f64 v[96:97], v[140:141], -v[160:161]
	v_add_f64 v[102:103], v[84:85], v[102:103]
	v_add_f64 v[106:107], v[86:87], v[106:107]
	;; [unrolled: 1-line block ×25, first 2 shown]
	v_mul_f64 v[98:99], v[96:97], s[28:29]
	v_add_f64 v[90:91], v[138:139], -v[90:91]
	v_fma_f64 v[138:139], v[92:93], s[2:3], -v[98:99]
	v_add_f64 v[94:95], v[140:141], v[160:161]
	v_add_f64 v[102:103], v[138:139], v[102:103]
	v_mul_f64 v[138:139], v[90:91], s[28:29]
	v_fmac_f64_e32 v[98:99], s[2:3], v[92:93]
	v_add_f64 v[98:99], v[98:99], v[100:101]
	v_fma_f64 v[100:101], v[94:95], s[2:3], -v[138:139]
	v_add_f64 v[100:101], v[100:101], v[104:105]
	v_mul_f64 v[104:105], v[96:97], s[22:23]
	v_fma_f64 v[140:141], s[2:3], v[94:95], v[138:139]
	v_fma_f64 v[138:139], v[92:93], s[20:21], -v[104:105]
	v_add_f64 v[110:111], v[138:139], v[110:111]
	v_mul_f64 v[138:139], v[90:91], s[22:23]
	v_fmac_f64_e32 v[104:105], s[20:21], v[92:93]
	v_add_f64 v[104:105], v[104:105], v[108:109]
	v_fma_f64 v[108:109], v[94:95], s[20:21], -v[138:139]
	v_add_f64 v[108:109], v[108:109], v[128:129]
	v_mul_f64 v[128:129], v[96:97], s[36:37]
	v_add_f64 v[106:107], v[140:141], v[106:107]
	v_fma_f64 v[140:141], s[20:21], v[94:95], v[138:139]
	v_fma_f64 v[138:139], v[92:93], s[34:35], -v[128:129]
	v_add_f64 v[134:135], v[138:139], v[134:135]
	v_mul_f64 v[138:139], v[90:91], s[36:37]
	v_fmac_f64_e32 v[128:129], s[34:35], v[92:93]
	v_add_f64 v[128:129], v[128:129], v[132:133]
	v_fma_f64 v[132:133], v[94:95], s[34:35], -v[138:139]
	v_add_f64 v[130:131], v[140:141], v[130:131]
	v_fma_f64 v[140:141], s[34:35], v[94:95], v[138:139]
	v_add_f64 v[132:133], v[132:133], v[136:137]
	v_mul_f64 v[136:137], v[96:97], s[40:41]
	v_add_f64 v[140:141], v[140:141], v[142:143]
	v_fma_f64 v[138:139], v[92:93], s[24:25], -v[136:137]
	v_mul_f64 v[142:143], v[90:91], s[40:41]
	v_fmac_f64_e32 v[136:137], s[24:25], v[92:93]
	v_add_f64 v[138:139], v[138:139], v[146:147]
	v_fma_f64 v[146:147], s[24:25], v[94:95], v[142:143]
	v_add_f64 v[136:137], v[136:137], v[144:145]
	v_fma_f64 v[142:143], v[94:95], s[24:25], -v[142:143]
	v_mul_f64 v[144:145], v[96:97], s[30:31]
	v_add_f64 v[146:147], v[146:147], v[150:151]
	v_add_f64 v[142:143], v[142:143], v[148:149]
	v_fma_f64 v[148:149], v[92:93], s[0:1], -v[144:145]
	v_mul_f64 v[150:151], v[90:91], s[30:31]
	s_mov_b32 s19, 0x3fddbe06
	v_add_f64 v[148:149], v[148:149], v[154:155]
	v_fma_f64 v[154:155], s[0:1], v[94:95], v[150:151]
	v_fmac_f64_e32 v[144:145], s[0:1], v[92:93]
	v_fma_f64 v[150:151], v[94:95], s[0:1], -v[150:151]
	v_mul_f64 v[96:97], v[96:97], s[18:19]
	v_mul_f64 v[90:91], v[90:91], s[18:19]
	v_add_f64 v[144:145], v[144:145], v[152:153]
	v_add_f64 v[150:151], v[150:151], v[156:157]
	v_fma_f64 v[152:153], v[92:93], s[16:17], -v[96:97]
	v_fma_f64 v[156:157], s[16:17], v[94:95], v[90:91]
	v_fmac_f64_e32 v[96:97], s[16:17], v[92:93]
	v_fma_f64 v[90:91], v[94:95], s[16:17], -v[90:91]
	v_add_f64 v[92:93], v[44:45], v[46:47]
	v_add_f64 v[44:45], v[44:45], -v[46:47]
	v_add_f64 v[86:87], v[90:91], v[86:87]
	v_add_f64 v[90:91], v[80:81], v[88:89]
	v_add_f64 v[80:81], v[80:81], -v[88:89]
	v_mul_f64 v[46:47], v[44:45], s[38:39]
	v_fma_f64 v[88:89], v[90:91], s[0:1], -v[46:47]
	v_mul_f64 v[94:95], v[80:81], s[38:39]
	v_fmac_f64_e32 v[46:47], s[0:1], v[90:91]
	v_add_f64 v[84:85], v[96:97], v[84:85]
	v_fma_f64 v[96:97], s[0:1], v[92:93], v[94:95]
	v_add_f64 v[46:47], v[46:47], v[98:99]
	v_fma_f64 v[94:95], v[92:93], s[0:1], -v[94:95]
	v_mul_f64 v[98:99], v[44:45], s[36:37]
	v_add_f64 v[88:89], v[88:89], v[102:103]
	v_add_f64 v[94:95], v[94:95], v[100:101]
	v_fma_f64 v[100:101], v[90:91], s[34:35], -v[98:99]
	v_mul_f64 v[102:103], v[80:81], s[36:37]
	v_fmac_f64_e32 v[98:99], s[34:35], v[90:91]
	v_add_f64 v[96:97], v[96:97], v[106:107]
	v_fma_f64 v[106:107], s[34:35], v[92:93], v[102:103]
	v_add_f64 v[98:99], v[98:99], v[104:105]
	v_fma_f64 v[102:103], v[92:93], s[34:35], -v[102:103]
	v_mul_f64 v[104:105], v[44:45], s[42:43]
	v_add_f64 v[100:101], v[100:101], v[110:111]
	v_add_f64 v[102:103], v[102:103], v[108:109]
	;; [unrolled: 10-line block ×4, first 2 shown]
	v_fma_f64 v[140:141], v[90:91], s[2:3], -v[136:137]
	v_mul_f64 v[142:143], v[80:81], s[28:29]
	v_mul_f64 v[80:81], v[80:81], s[26:27]
	v_add_f64 v[140:141], v[140:141], v[148:149]
	v_fmac_f64_e32 v[136:137], s[2:3], v[90:91]
	v_mul_f64 v[44:45], v[44:45], s[26:27]
	v_fma_f64 v[148:149], s[24:25], v[92:93], v[80:81]
	v_fma_f64 v[80:81], v[92:93], s[24:25], -v[80:81]
	v_add_f64 v[136:137], v[136:137], v[144:145]
	v_fma_f64 v[144:145], v[90:91], s[24:25], -v[44:45]
	v_fmac_f64_e32 v[44:45], s[24:25], v[90:91]
	v_add_f64 v[80:81], v[80:81], v[86:87]
	v_add_f64 v[86:87], v[36:37], v[38:39]
	v_add_f64 v[36:37], v[36:37], -v[38:39]
	v_add_f64 v[44:45], v[44:45], v[84:85]
	v_add_f64 v[84:85], v[40:41], v[42:43]
	v_mul_f64 v[38:39], v[36:37], s[22:23]
	v_add_f64 v[40:41], v[40:41], -v[42:43]
	v_fma_f64 v[42:43], v[84:85], s[20:21], -v[38:39]
	v_add_f64 v[42:43], v[42:43], v[88:89]
	v_mul_f64 v[88:89], v[40:41], s[22:23]
	v_fmac_f64_e32 v[38:39], s[20:21], v[84:85]
	v_fma_f64 v[90:91], s[20:21], v[86:87], v[88:89]
	v_add_f64 v[38:39], v[38:39], v[46:47]
	v_fma_f64 v[46:47], v[86:87], s[20:21], -v[88:89]
	v_mul_f64 v[88:89], v[36:37], s[40:41]
	v_add_f64 v[138:139], v[138:139], v[146:147]
	v_fma_f64 v[146:147], s[2:3], v[92:93], v[142:143]
	v_fma_f64 v[142:143], v[92:93], s[2:3], -v[142:143]
	v_add_f64 v[46:47], v[46:47], v[94:95]
	v_fma_f64 v[92:93], v[84:85], s[24:25], -v[88:89]
	v_mul_f64 v[94:95], v[40:41], s[40:41]
	v_fmac_f64_e32 v[88:89], s[24:25], v[84:85]
	v_add_f64 v[90:91], v[90:91], v[96:97]
	v_fma_f64 v[96:97], s[24:25], v[86:87], v[94:95]
	v_add_f64 v[88:89], v[88:89], v[98:99]
	v_fma_f64 v[94:95], v[86:87], s[24:25], -v[94:95]
	v_mul_f64 v[98:99], v[36:37], s[18:19]
	v_add_f64 v[92:93], v[92:93], v[100:101]
	v_add_f64 v[94:95], v[94:95], v[102:103]
	v_fma_f64 v[100:101], v[84:85], s[16:17], -v[98:99]
	v_mul_f64 v[102:103], v[40:41], s[18:19]
	v_fmac_f64_e32 v[98:99], s[16:17], v[84:85]
	v_add_f64 v[96:97], v[96:97], v[106:107]
	v_fma_f64 v[106:107], s[16:17], v[86:87], v[102:103]
	v_add_f64 v[98:99], v[98:99], v[104:105]
	v_fma_f64 v[102:103], v[86:87], s[16:17], -v[102:103]
	v_mul_f64 v[104:105], v[36:37], s[38:39]
	v_add_f64 v[100:101], v[100:101], v[108:109]
	v_add_f64 v[102:103], v[102:103], v[110:111]
	v_fma_f64 v[108:109], v[84:85], s[0:1], -v[104:105]
	v_mul_f64 v[110:111], v[40:41], s[38:39]
	v_fmac_f64_e32 v[104:105], s[0:1], v[84:85]
	s_mov_b32 s41, 0x3fcea1e5
	s_mov_b32 s40, s36
	v_add_f64 v[106:107], v[106:107], v[130:131]
	v_fma_f64 v[130:131], s[0:1], v[86:87], v[110:111]
	v_add_f64 v[104:105], v[104:105], v[128:129]
	v_fma_f64 v[110:111], v[86:87], s[0:1], -v[110:111]
	v_mul_f64 v[128:129], v[36:37], s[40:41]
	s_mov_b32 s39, 0x3fea55e2
	s_mov_b32 s38, s28
	v_add_f64 v[108:109], v[108:109], v[132:133]
	v_add_f64 v[110:111], v[110:111], v[134:135]
	v_fma_f64 v[132:133], v[84:85], s[34:35], -v[128:129]
	v_mul_f64 v[134:135], v[40:41], s[40:41]
	v_mul_f64 v[40:41], v[40:41], s[38:39]
	v_add_f64 v[132:133], v[132:133], v[140:141]
	v_fmac_f64_e32 v[128:129], s[34:35], v[84:85]
	v_mul_f64 v[36:37], v[36:37], s[38:39]
	v_fma_f64 v[140:141], s[2:3], v[86:87], v[40:41]
	v_fma_f64 v[40:41], v[86:87], s[2:3], -v[40:41]
	v_add_f64 v[128:129], v[128:129], v[136:137]
	v_fma_f64 v[136:137], v[84:85], s[2:3], -v[36:37]
	v_fmac_f64_e32 v[36:37], s[2:3], v[84:85]
	v_add_f64 v[40:41], v[40:41], v[80:81]
	v_add_f64 v[80:81], v[12:13], v[14:15]
	v_add_f64 v[12:13], v[12:13], -v[14:15]
	v_add_f64 v[36:37], v[36:37], v[44:45]
	v_add_f64 v[44:45], v[28:29], v[30:31]
	v_mul_f64 v[14:15], v[12:13], s[26:27]
	v_add_f64 v[28:29], v[28:29], -v[30:31]
	v_fma_f64 v[30:31], v[44:45], s[24:25], -v[14:15]
	v_add_f64 v[30:31], v[30:31], v[42:43]
	v_mul_f64 v[42:43], v[28:29], s[26:27]
	v_fmac_f64_e32 v[14:15], s[24:25], v[44:45]
	v_fma_f64 v[84:85], s[24:25], v[80:81], v[42:43]
	v_add_f64 v[14:15], v[14:15], v[38:39]
	v_fma_f64 v[38:39], v[80:81], s[24:25], -v[42:43]
	v_mul_f64 v[42:43], v[12:13], s[30:31]
	v_add_f64 v[38:39], v[38:39], v[46:47]
	v_fma_f64 v[46:47], v[44:45], s[0:1], -v[42:43]
	v_fmac_f64_e32 v[42:43], s[0:1], v[44:45]
	v_add_f64 v[130:131], v[130:131], v[138:139]
	v_fma_f64 v[138:139], s[34:35], v[86:87], v[134:135]
	v_fma_f64 v[134:135], v[86:87], s[34:35], -v[134:135]
	v_mul_f64 v[86:87], v[28:29], s[30:31]
	v_add_f64 v[42:43], v[42:43], v[88:89]
	v_mul_f64 v[88:89], v[12:13], s[28:29]
	v_add_f64 v[84:85], v[84:85], v[90:91]
	v_add_f64 v[46:47], v[46:47], v[92:93]
	v_fma_f64 v[90:91], s[0:1], v[80:81], v[86:87]
	v_fma_f64 v[86:87], v[80:81], s[0:1], -v[86:87]
	v_fma_f64 v[92:93], v[44:45], s[2:3], -v[88:89]
	v_fmac_f64_e32 v[88:89], s[2:3], v[44:45]
	v_add_f64 v[86:87], v[86:87], v[94:95]
	v_mul_f64 v[94:95], v[28:29], s[28:29]
	v_add_f64 v[88:89], v[88:89], v[98:99]
	v_mul_f64 v[98:99], v[12:13], s[40:41]
	v_add_f64 v[90:91], v[90:91], v[96:97]
	v_add_f64 v[92:93], v[92:93], v[100:101]
	v_fma_f64 v[96:97], s[2:3], v[80:81], v[94:95]
	v_fma_f64 v[94:95], v[80:81], s[2:3], -v[94:95]
	v_fma_f64 v[100:101], v[44:45], s[34:35], -v[98:99]
	v_fmac_f64_e32 v[98:99], s[34:35], v[44:45]
	v_add_f64 v[154:155], v[154:155], v[158:159]
	v_add_f64 v[152:153], v[152:153], v[162:163]
	;; [unrolled: 1-line block ×3, first 2 shown]
	v_mul_f64 v[102:103], v[28:29], s[40:41]
	v_add_f64 v[98:99], v[98:99], v[104:105]
	v_mul_f64 v[104:105], v[12:13], s[18:19]
	v_add_f64 v[156:157], v[156:157], v[164:165]
	v_add_f64 v[146:147], v[146:147], v[154:155]
	;; [unrolled: 1-line block ×5, first 2 shown]
	v_fma_f64 v[106:107], s[34:35], v[80:81], v[102:103]
	v_fma_f64 v[102:103], v[80:81], s[34:35], -v[102:103]
	v_fma_f64 v[108:109], v[44:45], s[16:17], -v[104:105]
	v_fmac_f64_e32 v[104:105], s[16:17], v[44:45]
	v_mul_f64 v[12:13], v[12:13], s[22:23]
	v_add_f64 v[152:153], v[4:5], -v[6:7]
	v_add_f64 v[142:143], v[142:143], v[150:151]
	v_add_f64 v[148:149], v[148:149], v[156:157]
	;; [unrolled: 1-line block ×5, first 2 shown]
	v_mul_f64 v[110:111], v[28:29], s[18:19]
	v_add_f64 v[104:105], v[104:105], v[128:129]
	v_fma_f64 v[128:129], v[44:45], s[20:21], -v[12:13]
	v_mul_f64 v[28:29], v[28:29], s[22:23]
	v_fmac_f64_e32 v[12:13], s[20:21], v[44:45]
	v_add_f64 v[146:147], v[8:9], v[10:11]
	v_add_f64 v[150:151], v[8:9], -v[10:11]
	v_mul_f64 v[8:9], v[152:153], s[36:37]
	v_add_f64 v[140:141], v[140:141], v[148:149]
	v_add_f64 v[144:145], v[128:129], v[136:137]
	v_fma_f64 v[128:129], s[20:21], v[80:81], v[28:29]
	v_add_f64 v[44:45], v[12:13], v[36:37]
	v_fma_f64 v[12:13], v[80:81], s[20:21], -v[28:29]
	v_add_f64 v[148:149], v[4:5], v[6:7]
	v_fma_f64 v[4:5], v[146:147], s[34:35], -v[8:9]
	v_mul_f64 v[10:11], v[150:151], s[36:37]
	v_fmac_f64_e32 v[8:9], s[34:35], v[146:147]
	v_add_f64 v[106:107], v[106:107], v[130:131]
	v_fma_f64 v[130:131], s[16:17], v[80:81], v[110:111]
	v_fma_f64 v[110:111], v[80:81], s[16:17], -v[110:111]
	v_add_f64 v[140:141], v[128:129], v[140:141]
	v_add_f64 v[80:81], v[12:13], v[40:41]
	;; [unrolled: 1-line block ×3, first 2 shown]
	v_fma_f64 v[8:9], v[148:149], s[34:35], -v[10:11]
	v_mul_f64 v[12:13], v[152:153], s[18:19]
	v_add_f64 v[134:135], v[134:135], v[142:143]
	v_add_f64 v[142:143], v[130:131], v[138:139]
	;; [unrolled: 1-line block ×3, first 2 shown]
	v_fma_f64 v[8:9], v[146:147], s[16:17], -v[12:13]
	v_mul_f64 v[14:15], v[150:151], s[18:19]
	v_fmac_f64_e32 v[12:13], s[16:17], v[146:147]
	v_add_f64 v[108:109], v[108:109], v[132:133]
	v_add_f64 v[132:133], v[12:13], v[42:43]
	v_fma_f64 v[12:13], v[148:149], s[16:17], -v[14:15]
	v_mul_f64 v[28:29], v[152:153], s[26:27]
	v_add_f64 v[110:111], v[110:111], v[134:135]
	v_add_f64 v[4:5], v[4:5], v[30:31]
	;; [unrolled: 1-line block ×3, first 2 shown]
	v_fma_f64 v[12:13], v[146:147], s[24:25], -v[28:29]
	v_mul_f64 v[30:31], v[150:151], s[26:27]
	v_fmac_f64_e32 v[28:29], s[24:25], v[146:147]
	v_add_f64 v[136:137], v[28:29], v[88:89]
	v_fma_f64 v[28:29], v[148:149], s[24:25], -v[30:31]
	v_mul_f64 v[36:37], v[152:153], s[38:39]
	v_accvgpr_write_b32 a31, v19
	v_fma_f64 v[6:7], s[34:35], v[148:149], v[10:11]
	v_add_f64 v[8:9], v[8:9], v[46:47]
	v_fma_f64 v[10:11], s[16:17], v[148:149], v[14:15]
	v_add_f64 v[138:139], v[28:29], v[94:95]
	v_fma_f64 v[28:29], v[146:147], s[2:3], -v[36:37]
	v_mul_f64 v[38:39], v[150:151], s[38:39]
	v_fmac_f64_e32 v[36:37], s[2:3], v[146:147]
	v_mul_f64 v[46:47], v[152:153], s[30:31]
	v_accvgpr_write_b32 a30, v18
	v_accvgpr_write_b32 a29, v17
	;; [unrolled: 1-line block ×3, first 2 shown]
	v_add_f64 v[6:7], v[6:7], v[84:85]
	v_add_f64 v[10:11], v[10:11], v[90:91]
	;; [unrolled: 1-line block ×3, first 2 shown]
	v_fma_f64 v[36:37], v[148:149], s[2:3], -v[38:39]
	v_mul_f64 v[40:41], v[152:153], s[22:23]
	v_mul_f64 v[42:43], v[150:151], s[22:23]
	v_fma_f64 v[84:85], v[146:147], s[0:1], -v[46:47]
	v_mul_f64 v[90:91], v[150:151], s[30:31]
	v_fmac_f64_e32 v[46:47], s[0:1], v[146:147]
	v_mul_u32_u24_e32 v16, 0xdd, v82
	v_accvgpr_write_b32 a60, v168
	v_fma_f64 v[14:15], s[24:25], v[148:149], v[30:31]
	v_fma_f64 v[30:31], s[2:3], v[148:149], v[38:39]
	v_add_f64 v[178:179], v[36:37], v[102:103]
	v_fma_f64 v[36:37], v[146:147], s[20:21], -v[40:41]
	v_fma_f64 v[38:39], s[20:21], v[148:149], v[42:43]
	v_fmac_f64_e32 v[40:41], s[20:21], v[146:147]
	v_fma_f64 v[42:43], v[148:149], s[20:21], -v[42:43]
	v_fma_f64 v[86:87], s[0:1], v[148:149], v[90:91]
	v_add_f64 v[88:89], v[46:47], v[44:45]
	v_fma_f64 v[44:45], v[148:149], s[0:1], -v[90:91]
	v_add_lshl_u32 v46, v16, v83, 4
	v_accvgpr_write_b32 a61, v169
	v_accvgpr_write_b32 a62, v170
	;; [unrolled: 1-line block ×3, first 2 shown]
	v_add_f64 v[12:13], v[12:13], v[92:93]
	v_add_f64 v[14:15], v[14:15], v[96:97]
	;; [unrolled: 1-line block ×11, first 2 shown]
	ds_write_b128 v46, v[0:3]
	ds_write_b128 v46, v[4:7] offset:272
	ds_write_b128 v46, v[8:11] offset:544
	;; [unrolled: 1-line block ×12, first 2 shown]
	s_waitcnt lgkmcnt(0)
	s_barrier
	ds_read_b128 v[144:147], v236
	ds_read_b128 v[172:175], v236 offset:3536
	ds_read_b128 v[168:171], v236 offset:7072
	;; [unrolled: 1-line block ×8, first 2 shown]
	v_accvgpr_write_b32 a39, v23
	v_accvgpr_write_b32 a59, v35
	;; [unrolled: 1-line block ×3, first 2 shown]
	s_movk_i32 s0, 0x44
	v_accvgpr_write_b32 a38, v22
	v_accvgpr_write_b32 a37, v21
	v_accvgpr_write_b32 a36, v20
	v_accvgpr_write_b32 a58, v34
	v_accvgpr_write_b32 a57, v33
	v_accvgpr_write_b32 a56, v32
	v_accvgpr_write_b32 a54, v26
	v_accvgpr_write_b32 a53, v25
	v_accvgpr_write_b32 a52, v24
	v_cmp_gt_u16_e64 s[2:3], s0, v208
	s_and_saveexec_b64 s[0:1], s[2:3]
	s_cbranch_execz .LBB0_9
; %bb.8:
	ds_read_b128 v[176:179], v236 offset:2448
	ds_read_b128 v[136:139], v236 offset:5984
	;; [unrolled: 1-line block ×9, first 2 shown]
.LBB0_9:
	s_or_b64 exec, exec, s[0:1]
	s_movk_i32 s16, 0xffbc
	v_lshlrev_b32_e32 v0, 7, v208
	s_mov_b64 s[0:1], 0x99
	s_mov_b32 s17, -1
	global_load_dwordx4 v[92:95], v0, s[6:7] offset:3264
	global_load_dwordx4 v[88:91], v0, s[6:7] offset:3280
	;; [unrolled: 1-line block ×8, first 2 shown]
	v_lshl_add_u64 v[0:1], v[208:209], 0, s[0:1]
	v_lshl_add_u64 v[2:3], v[208:209], 0, s[16:17]
	v_cndmask_b32_e64 v1, v3, v1, s[2:3]
	v_cndmask_b32_e64 v0, v2, v0, s[2:3]
	v_lshlrev_b64 v[0:1], 7, v[0:1]
	v_lshl_add_u64 v[0:1], s[6:7], 0, v[0:1]
	global_load_dwordx4 v[16:19], v[0:1], off offset:3264
	global_load_dwordx4 v[32:35], v[0:1], off offset:3280
	;; [unrolled: 1-line block ×8, first 2 shown]
	s_mov_b32 s26, 0x523c161c
	s_mov_b32 s16, 0xa2cf5039
	;; [unrolled: 1-line block ×18, first 2 shown]
	s_waitcnt vmcnt(15) lgkmcnt(7)
	v_mul_f64 v[0:1], v[174:175], v[94:95]
	v_mul_f64 v[30:31], v[172:173], v[94:95]
	s_waitcnt vmcnt(13) lgkmcnt(5)
	v_mul_f64 v[38:39], v[164:165], v[86:87]
	v_mul_f64 v[4:5], v[166:167], v[86:87]
	;; [unrolled: 3-line block ×3, first 2 shown]
	s_waitcnt vmcnt(9) lgkmcnt(1)
	v_mul_f64 v[42:43], v[148:149], v[102:103]
	s_waitcnt vmcnt(8) lgkmcnt(0)
	v_mul_f64 v[44:45], v[142:143], v[98:99]
	v_mul_f64 v[184:185], v[140:141], v[98:99]
	v_fmac_f64_e32 v[38:39], v[166:167], v[84:85]
	v_mul_f64 v[2:3], v[170:171], v[90:91]
	v_mul_f64 v[36:37], v[168:169], v[90:91]
	;; [unrolled: 1-line block ×3, first 2 shown]
	s_waitcnt vmcnt(1)
	v_mul_f64 v[166:167], v[112:113], v[202:203]
	v_mul_f64 v[40:41], v[152:153], v[106:107]
	;; [unrolled: 1-line block ×3, first 2 shown]
	v_fma_f64 v[172:173], v[172:173], v[92:93], -v[0:1]
	v_fmac_f64_e32 v[30:31], v[174:175], v[92:93]
	v_fma_f64 v[160:161], v[160:161], v[80:81], -v[6:7]
	v_fmac_f64_e32 v[14:15], v[162:163], v[80:81]
	v_fmac_f64_e32 v[42:43], v[150:151], v[100:101]
	v_fma_f64 v[44:45], v[140:141], v[96:97], -v[44:45]
	v_fmac_f64_e32 v[184:185], v[142:143], v[96:97]
	v_mul_f64 v[6:7], v[134:135], v[34:35]
	v_mul_f64 v[150:151], v[122:123], v[198:199]
	v_mul_f64 v[162:163], v[114:115], v[202:203]
	v_fmac_f64_e32 v[166:167], v[114:115], v[200:201]
	s_waitcnt vmcnt(0)
	v_mul_f64 v[114:115], v[182:183], v[190:191]
	v_mul_f64 v[8:9], v[158:159], v[110:111]
	;; [unrolled: 1-line block ×3, first 2 shown]
	v_fma_f64 v[168:169], v[168:169], v[88:89], -v[2:3]
	v_fmac_f64_e32 v[36:37], v[170:171], v[88:89]
	v_fmac_f64_e32 v[28:29], v[158:159], v[108:109]
	v_fmac_f64_e32 v[40:41], v[154:155], v[104:105]
	v_fma_f64 v[148:149], v[148:149], v[100:101], -v[12:13]
	v_mul_f64 v[154:155], v[118:119], v[194:195]
	v_mul_f64 v[158:159], v[116:117], v[194:195]
	v_fma_f64 v[174:175], v[132:133], v[32:33], -v[6:7]
	v_fma_f64 v[6:7], v[120:121], v[196:197], -v[150:151]
	v_accvgpr_write_b32 a40, v192
	v_fma_f64 v[112:113], v[112:113], v[200:201], -v[162:163]
	v_fma_f64 v[114:115], v[180:181], v[188:189], -v[114:115]
	v_mul_f64 v[162:163], v[180:181], v[190:191]
	v_accvgpr_write_b32 a32, v188
	v_add_f64 v[150:151], v[172:173], v[44:45]
	v_add_f64 v[180:181], v[30:31], v[184:185]
	v_add_f64 v[44:45], v[172:173], -v[44:45]
	v_fma_f64 v[164:165], v[164:165], v[84:85], -v[4:5]
	v_fma_f64 v[152:153], v[152:153], v[104:105], -v[10:11]
	v_mul_f64 v[10:11], v[132:133], v[34:35]
	v_fma_f64 v[154:155], v[116:117], v[192:193], -v[154:155]
	v_accvgpr_write_b32 a41, v193
	v_accvgpr_write_b32 a42, v194
	;; [unrolled: 1-line block ×3, first 2 shown]
	v_fmac_f64_e32 v[158:159], v[118:119], v[192:193]
	v_accvgpr_write_b32 a33, v189
	v_accvgpr_write_b32 a34, v190
	v_accvgpr_write_b32 a35, v191
	v_fmac_f64_e32 v[162:163], v[182:183], v[188:189]
	v_add_f64 v[188:189], v[36:37], v[42:43]
	v_add_f64 v[192:193], v[38:39], v[40:41]
	v_add_f64 v[132:133], v[168:169], -v[148:149]
	v_add_f64 v[38:39], v[38:39], -v[40:41]
	v_mul_f64 v[40:41], v[44:45], s[26:27]
	v_fma_f64 v[118:119], s[16:17], v[180:181], v[146:147]
	v_fma_f64 v[156:157], v[156:157], v[108:109], -v[8:9]
	v_add_f64 v[30:31], v[30:31], -v[184:185]
	v_add_f64 v[36:37], v[36:37], -v[42:43]
	;; [unrolled: 1-line block ×3, first 2 shown]
	v_fmac_f64_e32 v[40:41], s[0:1], v[132:133]
	v_fmac_f64_e32 v[118:119], s[20:21], v[188:189]
	v_mul_f64 v[2:3], v[120:121], v[198:199]
	v_fmac_f64_e32 v[10:11], v[134:135], v[32:33]
	v_add_f64 v[182:183], v[168:169], v[148:149]
	v_add_f64 v[190:191], v[164:165], v[152:153]
	v_mul_f64 v[120:121], v[30:31], s[26:27]
	v_fmac_f64_e32 v[40:41], s[6:7], v[42:43]
	v_add_f64 v[134:135], v[160:161], -v[156:157]
	v_fma_f64 v[116:117], s[16:17], v[150:151], v[144:145]
	v_fmac_f64_e32 v[118:119], -0.5, v[192:193]
	v_add_f64 v[164:165], v[14:15], v[28:29]
	v_fmac_f64_e32 v[120:121], s[0:1], v[36:37]
	v_fmac_f64_e32 v[40:41], s[18:19], v[134:135]
	;; [unrolled: 1-line block ×4, first 2 shown]
	v_mul_f64 v[0:1], v[124:125], v[26:27]
	v_fmac_f64_e32 v[120:121], s[6:7], v[38:39]
	v_add_f64 v[148:149], v[14:15], -v[28:29]
	v_fmac_f64_e32 v[116:117], -0.5, v[190:191]
	v_add_f64 v[152:153], v[160:161], v[156:157]
	v_add_f64 v[118:119], v[118:119], -v[40:41]
	v_mul_f64 v[142:143], v[126:127], v[26:27]
	v_fmac_f64_e32 v[0:1], v[126:127], v[24:25]
	v_fmac_f64_e32 v[2:3], v[122:123], v[196:197]
	v_fmac_f64_e32 v[120:121], s[18:19], v[148:149]
	v_fmac_f64_e32 v[116:117], s[22:23], v[152:153]
	v_fma_f64 v[126:127], 2.0, v[40:41], v[118:119]
	v_mul_f64 v[40:41], v[134:135], s[24:25]
	v_fma_f64 v[122:123], s[16:17], v[164:165], v[146:147]
	v_mul_f64 v[4:5], v[138:139], v[18:19]
	v_mul_f64 v[140:141], v[130:131], v[22:23]
	v_add_f64 v[116:117], v[120:121], v[116:117]
	v_fmac_f64_e32 v[40:41], s[0:1], v[44:45]
	v_fmac_f64_e32 v[122:123], s[20:21], v[180:181]
	v_mul_f64 v[12:13], v[128:129], v[22:23]
	v_fma_f64 v[170:171], v[136:137], v[16:17], -v[4:5]
	v_fma_f64 v[186:187], v[128:129], v[20:21], -v[140:141]
	;; [unrolled: 1-line block ×3, first 2 shown]
	v_fma_f64 v[124:125], -2.0, v[120:121], v[116:117]
	v_mul_f64 v[128:129], v[148:149], s[24:25]
	v_fmac_f64_e32 v[40:41], s[28:29], v[42:43]
	v_fma_f64 v[120:121], s[16:17], v[152:153], v[144:145]
	v_fmac_f64_e32 v[122:123], -0.5, v[192:193]
	v_fmac_f64_e32 v[128:129], s[0:1], v[30:31]
	v_fmac_f64_e32 v[40:41], s[18:19], v[132:133]
	v_fmac_f64_e32 v[120:121], s[20:21], v[150:151]
	v_fmac_f64_e32 v[122:123], s[22:23], v[188:189]
	v_mul_f64 v[8:9], v[136:137], v[18:19]
	v_accvgpr_write_b32 a44, v196
	v_fmac_f64_e32 v[128:129], s[28:29], v[38:39]
	v_fmac_f64_e32 v[120:121], -0.5, v[190:191]
	v_add_f64 v[122:123], v[122:123], -v[40:41]
	v_add_f64 v[184:185], v[188:189], v[180:181]
	v_fmac_f64_e32 v[8:9], v[138:139], v[16:17]
	v_fmac_f64_e32 v[12:13], v[130:131], v[20:21]
	v_accvgpr_write_b32 a45, v197
	v_accvgpr_write_b32 a46, v198
	;; [unrolled: 1-line block ×3, first 2 shown]
	v_fmac_f64_e32 v[128:129], s[18:19], v[36:37]
	v_fmac_f64_e32 v[120:121], s[22:23], v[182:183]
	v_fma_f64 v[138:139], 2.0, v[40:41], v[122:123]
	v_add_f64 v[40:41], v[134:135], v[44:45]
	v_add_f64 v[130:131], v[146:147], v[192:193]
	;; [unrolled: 1-line block ×4, first 2 shown]
	v_add_f64 v[40:41], v[40:41], -v[132:133]
	v_fmac_f64_e32 v[130:131], -0.5, v[196:197]
	v_fma_f64 v[136:137], -2.0, v[128:129], v[120:121]
	v_add_f64 v[128:129], v[148:149], v[30:31]
	v_mul_f64 v[142:143], v[40:41], s[6:7]
	v_fmac_f64_e32 v[130:131], s[28:29], v[40:41]
	v_mul_f64 v[40:41], v[134:135], s[0:1]
	v_mul_f64 v[134:135], v[148:149], s[0:1]
	v_add_f64 v[140:141], v[128:129], -v[36:37]
	v_fma_f64 v[36:37], v[36:37], s[24:25], -v[134:135]
	v_add_f64 v[172:173], v[182:183], v[150:151]
	v_fmac_f64_e32 v[36:37], s[6:7], v[38:39]
	v_fmac_f64_e32 v[36:37], s[18:19], v[30:31]
	v_add_f64 v[30:31], v[190:191], v[172:173]
	v_add_f64 v[38:39], v[192:193], v[184:185]
	;; [unrolled: 1-line block ×6, first 2 shown]
	v_fma_f64 v[40:41], v[132:133], s[24:25], -v[40:41]
	v_add_f64 v[14:15], v[28:29], v[14:15]
	v_add_f64 v[132:133], v[144:145], v[30:31]
	v_fmac_f64_e32 v[144:145], s[16:17], v[182:183]
	v_add_f64 v[134:135], v[146:147], v[14:15]
	v_fmac_f64_e32 v[146:147], s[16:17], v[188:189]
	v_fmac_f64_e32 v[144:145], s[20:21], v[152:153]
	;; [unrolled: 1-line block ×3, first 2 shown]
	v_fmac_f64_e32 v[144:145], -0.5, v[190:191]
	v_fmac_f64_e32 v[40:41], s[6:7], v[42:43]
	v_fmac_f64_e32 v[146:147], -0.5, v[192:193]
	v_fmac_f64_e32 v[144:145], s[22:23], v[150:151]
	v_fmac_f64_e32 v[40:41], s[18:19], v[44:45]
	;; [unrolled: 1-line block ×3, first 2 shown]
	v_add_f64 v[144:145], v[36:37], v[144:145]
	v_add_f64 v[28:29], v[8:9], v[162:163]
	v_add_f64 v[42:43], v[170:171], -v[114:115]
	v_add_f64 v[146:147], v[146:147], -v[40:41]
	v_fma_f64 v[148:149], -2.0, v[36:37], v[144:145]
	v_add_f64 v[14:15], v[170:171], v[114:115]
	v_add_f64 v[30:31], v[174:175], v[112:113]
	;; [unrolled: 1-line block ×4, first 2 shown]
	v_add_f64 v[44:45], v[174:175], -v[112:113]
	v_add_f64 v[112:113], v[186:187], -v[154:155]
	v_mul_f64 v[114:115], v[42:43], s[26:27]
	v_fma_f64 v[154:155], s[16:17], v[28:29], v[178:179]
	v_fma_f64 v[150:151], 2.0, v[40:41], v[146:147]
	v_add_f64 v[40:41], v[12:13], v[158:159]
	v_add_f64 v[8:9], v[8:9], -v[162:163]
	v_fmac_f64_e32 v[114:115], s[0:1], v[44:45]
	v_fmac_f64_e32 v[154:155], s[20:21], v[36:37]
	v_add_f64 v[194:195], v[152:153], v[172:173]
	v_add_f64 v[10:11], v[10:11], -v[166:167]
	v_mul_f64 v[156:157], v[8:9], s[26:27]
	v_fmac_f64_e32 v[114:115], s[6:7], v[112:113]
	v_add_f64 v[164:165], v[4:5], -v[6:7]
	v_fma_f64 v[152:153], s[16:17], v[14:15], v[176:177]
	v_fmac_f64_e32 v[154:155], -0.5, v[40:41]
	v_add_f64 v[182:183], v[0:1], v[2:3]
	v_add_f64 v[12:13], v[12:13], -v[158:159]
	v_fmac_f64_e32 v[156:157], s[0:1], v[10:11]
	v_fmac_f64_e32 v[114:115], s[18:19], v[164:165]
	;; [unrolled: 1-line block ×4, first 2 shown]
	v_accvgpr_write_b32 a4, v16
	v_fmac_f64_e32 v[156:157], s[6:7], v[12:13]
	v_add_f64 v[166:167], v[0:1], -v[2:3]
	v_fmac_f64_e32 v[152:153], -0.5, v[38:39]
	v_add_f64 v[180:181], v[4:5], v[6:7]
	v_add_f64 v[154:155], v[154:155], -v[114:115]
	v_accvgpr_write_b32 a5, v17
	v_accvgpr_write_b32 a6, v18
	;; [unrolled: 1-line block ×3, first 2 shown]
	v_fmac_f64_e32 v[156:157], s[18:19], v[166:167]
	v_fmac_f64_e32 v[152:153], s[22:23], v[180:181]
	v_fma_f64 v[18:19], 2.0, v[114:115], v[154:155]
	v_mul_f64 v[114:115], v[164:165], s[24:25]
	v_fma_f64 v[158:159], s[16:17], v[182:183], v[178:179]
	v_add_f64 v[152:153], v[156:157], v[152:153]
	v_fmac_f64_e32 v[114:115], s[0:1], v[42:43]
	v_fmac_f64_e32 v[158:159], s[20:21], v[28:29]
	v_fma_f64 v[16:17], -2.0, v[156:157], v[152:153]
	v_mul_f64 v[160:161], v[166:167], s[24:25]
	v_fmac_f64_e32 v[114:115], s[28:29], v[112:113]
	v_fma_f64 v[156:157], s[16:17], v[180:181], v[176:177]
	v_fmac_f64_e32 v[158:159], -0.5, v[40:41]
	v_fmac_f64_e32 v[160:161], s[0:1], v[8:9]
	v_fmac_f64_e32 v[114:115], s[18:19], v[44:45]
	;; [unrolled: 1-line block ×5, first 2 shown]
	v_fmac_f64_e32 v[156:157], -0.5, v[38:39]
	v_add_f64 v[158:159], v[158:159], -v[114:115]
	v_add_f64 v[188:189], v[36:37], v[28:29]
	v_fmac_f64_e32 v[128:129], -0.5, v[194:195]
	v_fmac_f64_e32 v[160:161], s[18:19], v[10:11]
	v_fmac_f64_e32 v[156:157], s[22:23], v[30:31]
	v_fma_f64 v[170:171], 2.0, v[114:115], v[158:159]
	v_add_f64 v[114:115], v[164:165], v[42:43]
	v_add_f64 v[162:163], v[178:179], v[40:41]
	;; [unrolled: 1-line block ×3, first 2 shown]
	v_mul_f64 v[168:169], v[140:141], s[6:7]
	v_fmac_f64_e32 v[128:129], s[6:7], v[140:141]
	v_add_f64 v[156:157], v[160:161], v[156:157]
	v_add_f64 v[114:115], v[114:115], -v[44:45]
	v_fmac_f64_e32 v[162:163], -0.5, v[192:193]
	v_fma_f64 v[140:141], -2.0, v[168:169], v[128:129]
	v_fma_f64 v[168:169], -2.0, v[160:161], v[156:157]
	v_add_f64 v[160:161], v[166:167], v[8:9]
	v_mul_f64 v[174:175], v[114:115], s[6:7]
	v_fmac_f64_e32 v[162:163], s[28:29], v[114:115]
	v_mul_f64 v[114:115], v[164:165], s[0:1]
	v_mul_f64 v[164:165], v[166:167], s[0:1]
	v_add_f64 v[172:173], v[160:161], -v[10:11]
	v_fma_f64 v[10:11], v[10:11], s[24:25], -v[164:165]
	v_add_f64 v[186:187], v[30:31], v[14:15]
	v_fmac_f64_e32 v[10:11], s[6:7], v[12:13]
	v_fmac_f64_e32 v[10:11], s[18:19], v[8:9]
	v_add_f64 v[8:9], v[38:39], v[186:187]
	v_add_f64 v[12:13], v[40:41], v[188:189]
	;; [unrolled: 1-line block ×9, first 2 shown]
	v_fmac_f64_e32 v[176:177], s[16:17], v[30:31]
	v_fmac_f64_e32 v[178:179], s[16:17], v[36:37]
	v_fma_f64 v[44:45], v[44:45], s[24:25], -v[114:115]
	v_fmac_f64_e32 v[176:177], s[20:21], v[180:181]
	v_fmac_f64_e32 v[178:179], s[20:21], v[182:183]
	v_add_f64 v[190:191], v[180:181], v[186:187]
	v_fmac_f64_e32 v[44:45], s[6:7], v[112:113]
	v_fmac_f64_e32 v[176:177], -0.5, v[38:39]
	v_fmac_f64_e32 v[178:179], -0.5, v[40:41]
	;; [unrolled: 1-line block ×3, first 2 shown]
	v_fmac_f64_e32 v[44:45], s[18:19], v[42:43]
	v_fmac_f64_e32 v[176:177], s[22:23], v[14:15]
	v_fmac_f64_e32 v[178:179], s[22:23], v[28:29]
	v_accvgpr_write_b32 a16, v32
	v_accvgpr_write_b32 a8, v20
	;; [unrolled: 1-line block ×5, first 2 shown]
	v_mul_f64 v[184:185], v[172:173], s[6:7]
	v_fmac_f64_e32 v[160:161], s[6:7], v[172:173]
	v_add_f64 v[176:177], v[10:11], v[176:177]
	v_add_f64 v[178:179], v[178:179], -v[44:45]
	v_accvgpr_write_b32 a17, v33
	v_accvgpr_write_b32 a18, v34
	;; [unrolled: 1-line block ×12, first 2 shown]
	v_fma_f64 v[142:143], 2.0, v[142:143], v[130:131]
	v_accvgpr_write_b32 a66, v18
	v_accvgpr_write_b32 a65, v17
	;; [unrolled: 1-line block ×3, first 2 shown]
	v_fma_f64 v[172:173], -2.0, v[184:185], v[160:161]
	v_fma_f64 v[174:175], 2.0, v[174:175], v[162:163]
	v_fma_f64 v[180:181], -2.0, v[10:11], v[176:177]
	v_fma_f64 v[182:183], 2.0, v[44:45], v[178:179]
	ds_write_b128 v236, v[132:135]
	ds_write_b128 v236, v[116:119] offset:3536
	ds_write_b128 v236, v[120:123] offset:7072
	;; [unrolled: 1-line block ×8, first 2 shown]
	s_and_saveexec_b64 s[0:1], s[2:3]
	s_cbranch_execz .LBB0_11
; %bb.10:
	ds_write_b128 v236, v[164:167] offset:2448
	ds_write_b128 v236, v[152:155] offset:5984
	;; [unrolled: 1-line block ×9, first 2 shown]
.LBB0_11:
	s_or_b64 exec, exec, s[0:1]
	s_waitcnt lgkmcnt(0)
	s_barrier
	s_and_saveexec_b64 s[0:1], s[4:5]
	s_cbranch_execz .LBB0_13
; %bb.12:
	v_mov_b32_e32 v237, 0
	v_lshl_add_u64 v[188:189], s[12:13], 0, v[236:237]
	v_add_co_u32_e32 v4, vcc, 0x7000, v188
	ds_read_b128 v[0:3], v236
	ds_read_b128 v[184:187], v236 offset:29952
	v_addc_co_u32_e32 v5, vcc, 0, v189, vcc
	global_load_dwordx4 v[4:7], v[4:5], off offset:3152
	s_mov_b64 s[6:7], 0x7c50
	v_lshl_add_u64 v[12:13], v[188:189], 0, s[6:7]
	s_mov_b32 s6, 0x9000
	s_waitcnt vmcnt(0) lgkmcnt(1)
	v_mul_f64 v[8:9], v[2:3], v[6:7]
	v_mul_f64 v[10:11], v[0:1], v[6:7]
	v_fma_f64 v[8:9], v[0:1], v[4:5], -v[8:9]
	v_fmac_f64_e32 v[10:11], v[2:3], v[4:5]
	global_load_dwordx4 v[4:7], v[12:13], off offset:1872
	ds_read_b128 v[0:3], v236 offset:1872
	ds_write_b128 v236, v[8:11]
	s_waitcnt vmcnt(0) lgkmcnt(1)
	v_mul_f64 v[8:9], v[2:3], v[6:7]
	v_mul_f64 v[10:11], v[0:1], v[6:7]
	v_fma_f64 v[8:9], v[0:1], v[4:5], -v[8:9]
	v_fmac_f64_e32 v[10:11], v[2:3], v[4:5]
	global_load_dwordx4 v[4:7], v[12:13], off offset:3744
	ds_read_b128 v[0:3], v236 offset:3744
	v_add_co_u32_e32 v12, vcc, s6, v188
	ds_write_b128 v236, v[8:11] offset:1872
	s_nop 0
	v_addc_co_u32_e32 v13, vcc, 0, v189, vcc
	s_mov_b32 s6, 0xa000
	s_waitcnt vmcnt(0) lgkmcnt(1)
	v_mul_f64 v[8:9], v[2:3], v[6:7]
	v_mul_f64 v[10:11], v[0:1], v[6:7]
	v_fma_f64 v[8:9], v[0:1], v[4:5], -v[8:9]
	v_fmac_f64_e32 v[10:11], v[2:3], v[4:5]
	global_load_dwordx4 v[4:7], v[12:13], off offset:576
	ds_read_b128 v[0:3], v236 offset:5616
	ds_write_b128 v236, v[8:11] offset:3744
	s_waitcnt vmcnt(0) lgkmcnt(1)
	v_mul_f64 v[8:9], v[2:3], v[6:7]
	v_mul_f64 v[10:11], v[0:1], v[6:7]
	v_fma_f64 v[8:9], v[0:1], v[4:5], -v[8:9]
	v_fmac_f64_e32 v[10:11], v[2:3], v[4:5]
	global_load_dwordx4 v[4:7], v[12:13], off offset:2448
	ds_read_b128 v[0:3], v236 offset:7488
	v_add_co_u32_e32 v12, vcc, s6, v188
	ds_write_b128 v236, v[8:11] offset:5616
	s_nop 0
	v_addc_co_u32_e32 v13, vcc, 0, v189, vcc
	s_mov_b32 s6, 0xb000
	s_waitcnt vmcnt(0) lgkmcnt(1)
	v_mul_f64 v[8:9], v[2:3], v[6:7]
	v_mul_f64 v[10:11], v[0:1], v[6:7]
	v_fma_f64 v[8:9], v[0:1], v[4:5], -v[8:9]
	v_fmac_f64_e32 v[10:11], v[2:3], v[4:5]
	global_load_dwordx4 v[4:7], v[12:13], off offset:224
	ds_read_b128 v[0:3], v236 offset:9360
	ds_write_b128 v236, v[8:11] offset:7488
	s_waitcnt vmcnt(0) lgkmcnt(1)
	v_mul_f64 v[8:9], v[2:3], v[6:7]
	v_mul_f64 v[10:11], v[0:1], v[6:7]
	v_fma_f64 v[8:9], v[0:1], v[4:5], -v[8:9]
	v_fmac_f64_e32 v[10:11], v[2:3], v[4:5]
	global_load_dwordx4 v[4:7], v[12:13], off offset:2096
	ds_read_b128 v[0:3], v236 offset:11232
	ds_write_b128 v236, v[8:11] offset:9360
	s_waitcnt vmcnt(0) lgkmcnt(1)
	v_mul_f64 v[8:9], v[2:3], v[6:7]
	v_mul_f64 v[10:11], v[0:1], v[6:7]
	v_fma_f64 v[8:9], v[0:1], v[4:5], -v[8:9]
	v_fmac_f64_e32 v[10:11], v[2:3], v[4:5]
	global_load_dwordx4 v[4:7], v[12:13], off offset:3968
	ds_read_b128 v[0:3], v236 offset:13104
	v_add_co_u32_e32 v12, vcc, s6, v188
	ds_write_b128 v236, v[8:11] offset:11232
	s_nop 0
	v_addc_co_u32_e32 v13, vcc, 0, v189, vcc
	s_mov_b32 s6, 0xc000
	s_waitcnt vmcnt(0) lgkmcnt(1)
	v_mul_f64 v[8:9], v[2:3], v[6:7]
	v_mul_f64 v[10:11], v[0:1], v[6:7]
	v_fma_f64 v[8:9], v[0:1], v[4:5], -v[8:9]
	v_fmac_f64_e32 v[10:11], v[2:3], v[4:5]
	global_load_dwordx4 v[4:7], v[12:13], off offset:1744
	ds_read_b128 v[0:3], v236 offset:14976
	ds_write_b128 v236, v[8:11] offset:13104
	s_waitcnt vmcnt(0) lgkmcnt(1)
	v_mul_f64 v[8:9], v[2:3], v[6:7]
	v_mul_f64 v[10:11], v[0:1], v[6:7]
	v_fma_f64 v[8:9], v[0:1], v[4:5], -v[8:9]
	v_fmac_f64_e32 v[10:11], v[2:3], v[4:5]
	global_load_dwordx4 v[4:7], v[12:13], off offset:3616
	ds_read_b128 v[0:3], v236 offset:16848
	v_add_co_u32_e32 v12, vcc, s6, v188
	ds_write_b128 v236, v[8:11] offset:14976
	s_nop 0
	v_addc_co_u32_e32 v13, vcc, 0, v189, vcc
	s_mov_b32 s6, 0xd000
	;; [unrolled: 20-line block ×4, first 2 shown]
	s_waitcnt vmcnt(0) lgkmcnt(1)
	v_mul_f64 v[8:9], v[2:3], v[6:7]
	v_mul_f64 v[10:11], v[0:1], v[6:7]
	v_fma_f64 v[8:9], v[0:1], v[4:5], -v[8:9]
	v_fmac_f64_e32 v[10:11], v[2:3], v[4:5]
	global_load_dwordx4 v[4:7], v[12:13], off offset:688
	ds_read_b128 v[0:3], v236 offset:26208
	ds_write_b128 v236, v[8:11] offset:24336
	s_waitcnt vmcnt(0) lgkmcnt(1)
	v_mul_f64 v[8:9], v[2:3], v[6:7]
	v_mul_f64 v[10:11], v[0:1], v[6:7]
	v_fma_f64 v[8:9], v[0:1], v[4:5], -v[8:9]
	v_fmac_f64_e32 v[10:11], v[2:3], v[4:5]
	global_load_dwordx4 v[4:7], v[12:13], off offset:2560
	ds_read_b128 v[0:3], v236 offset:28080
	ds_write_b128 v236, v[8:11] offset:26208
	s_waitcnt vmcnt(0) lgkmcnt(1)
	v_mul_f64 v[8:9], v[2:3], v[6:7]
	v_fma_f64 v[8:9], v[0:1], v[4:5], -v[8:9]
	v_mul_f64 v[10:11], v[0:1], v[6:7]
	v_add_co_u32_e32 v0, vcc, s6, v188
	v_fmac_f64_e32 v[10:11], v[2:3], v[4:5]
	s_nop 0
	v_addc_co_u32_e32 v1, vcc, 0, v189, vcc
	global_load_dwordx4 v[188:191], v[0:1], off offset:336
	ds_write_b128 v236, v[8:11] offset:28080
	s_waitcnt vmcnt(0)
	v_mul_f64 v[0:1], v[186:187], v[190:191]
	v_mul_f64 v[2:3], v[184:185], v[190:191]
	v_fma_f64 v[0:1], v[184:185], v[188:189], -v[0:1]
	v_fmac_f64_e32 v[2:3], v[186:187], v[188:189]
	ds_write_b128 v236, v[0:3] offset:29952
.LBB0_13:
	s_or_b64 exec, exec, s[0:1]
	s_waitcnt lgkmcnt(0)
	s_barrier
	s_and_saveexec_b64 s[0:1], s[4:5]
	s_cbranch_execz .LBB0_15
; %bb.14:
	ds_read_b128 v[132:135], v236
	ds_read_b128 v[116:119], v236 offset:1872
	ds_read_b128 v[120:123], v236 offset:3744
	;; [unrolled: 1-line block ×16, first 2 shown]
.LBB0_15:
	s_or_b64 exec, exec, s[0:1]
	s_mov_b32 s0, 0x370991
	s_waitcnt lgkmcnt(0)
	v_add_f64 v[228:229], v[118:119], v[170:171]
	s_mov_b32 s1, 0x3fedd6d0
	s_mov_b32 s30, 0x5d8e7cdc
	;; [unrolled: 1-line block ×3, first 2 shown]
	v_add_f64 v[238:239], v[116:117], -v[168:169]
	v_add_f64 v[224:225], v[118:119], -v[170:171]
	s_mov_b32 s31, 0xbfd71e95
	v_mul_f64 v[18:19], v[228:229], s[0:1]
	s_mov_b32 s16, 0x75d4884
	s_mov_b32 s37, 0xbfe58eea
	v_add_f64 v[250:251], v[116:117], v[168:169]
	v_fma_f64 v[2:3], s[30:31], v[238:239], v[18:19]
	s_mov_b32 s17, 0x3fe7a5f6
	v_mul_f64 v[20:21], v[224:225], s[36:37]
	v_add_f64 v[8:9], v[134:135], v[2:3]
	v_mul_f64 v[24:25], v[228:229], s[16:17]
	v_fma_f64 v[2:3], v[250:251], s[16:17], -v[20:21]
	s_mov_b32 s22, 0x7c9e640b
	v_add_f64 v[10:11], v[132:133], v[2:3]
	v_fma_f64 v[2:3], s[36:37], v[238:239], v[24:25]
	s_mov_b32 s23, 0xbfeca52d
	v_add_f64 v[12:13], v[134:135], v[2:3]
	s_mov_b32 s6, 0x2b2883cd
	v_mul_f64 v[2:3], v[224:225], s[22:23]
	s_mov_b32 s7, 0x3fdc86fa
	v_accvgpr_write_b32 a73, v3
	v_mul_f64 v[4:5], v[228:229], s[6:7]
	v_accvgpr_write_b32 a72, v2
	v_fma_f64 v[2:3], v[250:251], s[6:7], -v[2:3]
	s_mov_b32 s24, 0xeb564b22
	v_add_f64 v[14:15], v[132:133], v[2:3]
	v_fma_f64 v[2:3], s[22:23], v[238:239], v[4:5]
	s_mov_b32 s26, 0x3259b75e
	s_mov_b32 s25, 0xbfefdd0d
	v_add_f64 v[28:29], v[134:135], v[2:3]
	s_mov_b32 s27, 0x3fb79ee6
	v_mul_f64 v[2:3], v[224:225], s[24:25]
	v_mul_f64 v[6:7], v[228:229], s[26:27]
	v_accvgpr_write_b32 a97, v3
	v_mul_f64 v[16:17], v[224:225], s[30:31]
	v_accvgpr_write_b32 a87, v5
	v_accvgpr_write_b32 a96, v2
	v_fma_f64 v[2:3], v[250:251], s[26:27], -v[2:3]
	v_accvgpr_write_b32 a111, v7
	v_add_f64 v[226:227], v[122:123], -v[174:175]
	v_fma_f64 v[0:1], v[250:251], s[0:1], -v[16:17]
	v_accvgpr_write_b32 a86, v4
	v_add_f64 v[4:5], v[132:133], v[2:3]
	v_accvgpr_write_b32 a110, v6
	v_fma_f64 v[2:3], s[24:25], v[238:239], v[6:7]
	v_add_f64 v[252:253], v[120:121], v[172:173]
	v_add_f64 v[6:7], v[122:123], v[174:175]
	v_mul_f64 v[22:23], v[226:227], s[36:37]
	v_add_f64 v[0:1], v[132:133], v[0:1]
	v_add_f64 v[244:245], v[120:121], -v[172:173]
	v_mul_f64 v[26:27], v[6:7], s[16:17]
	v_fma_f64 v[30:31], v[252:253], s[16:17], -v[22:23]
	v_add_f64 v[0:1], v[30:31], v[0:1]
	v_fma_f64 v[30:31], s[36:37], v[244:245], v[26:27]
	v_mul_f64 v[32:33], v[226:227], s[24:25]
	v_add_f64 v[8:9], v[30:31], v[8:9]
	v_mul_f64 v[52:53], v[6:7], s[26:27]
	v_fma_f64 v[30:31], v[252:253], s[26:27], -v[32:33]
	s_mov_b32 s28, 0x6c9a05f6
	v_add_f64 v[10:11], v[30:31], v[10:11]
	v_fma_f64 v[30:31], s[24:25], v[244:245], v[52:53]
	s_mov_b32 s34, 0x6ed5f1bb
	s_mov_b32 s29, 0xbfe9895b
	v_add_f64 v[12:13], v[30:31], v[12:13]
	s_mov_b32 s35, 0xbfe348c8
	v_mul_f64 v[30:31], v[226:227], s[28:29]
	v_mul_f64 v[34:35], v[6:7], s[34:35]
	v_accvgpr_write_b32 a91, v31
	v_accvgpr_write_b32 a90, v30
	v_fma_f64 v[30:31], v[252:253], s[34:35], -v[30:31]
	v_accvgpr_write_b32 a109, v35
	v_add_f64 v[230:231], v[130:131], -v[182:183]
	v_add_f64 v[14:15], v[30:31], v[14:15]
	v_accvgpr_write_b32 a108, v34
	v_fma_f64 v[30:31], s[28:29], v[244:245], v[34:35]
	v_add_f64 v[240:241], v[128:129], v[180:181]
	v_add_f64 v[210:211], v[130:131], v[182:183]
	v_mul_f64 v[34:35], v[230:231], s[22:23]
	v_add_f64 v[28:29], v[30:31], v[28:29]
	v_add_f64 v[246:247], v[128:129], -v[180:181]
	v_mul_f64 v[58:59], v[210:211], s[6:7]
	v_fma_f64 v[30:31], v[240:241], s[6:7], -v[34:35]
	v_add_f64 v[0:1], v[30:31], v[0:1]
	v_fma_f64 v[30:31], s[22:23], v[246:247], v[58:59]
	v_add_f64 v[8:9], v[30:31], v[8:9]
	v_mul_f64 v[30:31], v[230:231], s[28:29]
	v_accvgpr_write_b32 a69, v31
	s_mov_b32 s20, 0xacd6c6b4
	v_mul_f64 v[36:37], v[210:211], s[34:35]
	v_accvgpr_write_b32 a68, v30
	v_fma_f64 v[30:31], v[240:241], s[34:35], -v[30:31]
	s_mov_b32 s21, 0xbfc7851a
	v_add_f64 v[10:11], v[30:31], v[10:11]
	v_fma_f64 v[30:31], s[28:29], v[246:247], v[36:37]
	s_mov_b32 s53, 0x3fc7851a
	s_mov_b32 s52, s20
	;; [unrolled: 1-line block ×3, first 2 shown]
	v_add_f64 v[12:13], v[30:31], v[12:13]
	v_mul_f64 v[30:31], v[230:231], s[52:53]
	s_mov_b32 s19, 0xbfef7484
	v_accvgpr_write_b32 a75, v37
	v_accvgpr_write_b32 a105, v31
	;; [unrolled: 1-line block ×3, first 2 shown]
	v_mul_f64 v[36:37], v[210:211], s[18:19]
	v_accvgpr_write_b32 a104, v30
	v_fma_f64 v[30:31], v[240:241], s[18:19], -v[30:31]
	v_add_f64 v[14:15], v[30:31], v[14:15]
	v_fma_f64 v[30:31], s[52:53], v[246:247], v[36:37]
	v_add_f64 v[234:235], v[146:147], -v[178:179]
	v_add_f64 v[28:29], v[30:31], v[28:29]
	v_mul_f64 v[30:31], v[234:235], s[24:25]
	v_accvgpr_write_b32 a123, v37
	v_add_f64 v[202:203], v[144:145], v[176:177]
	v_add_f64 v[232:233], v[146:147], v[178:179]
	v_accvgpr_write_b32 a71, v31
	v_accvgpr_write_b32 a122, v36
	v_add_f64 v[248:249], v[144:145], -v[176:177]
	v_mul_f64 v[36:37], v[232:233], s[26:27]
	v_accvgpr_write_b32 a70, v30
	v_fma_f64 v[30:31], v[202:203], s[26:27], -v[30:31]
	v_add_f64 v[0:1], v[30:31], v[0:1]
	v_fma_f64 v[30:31], s[24:25], v[248:249], v[36:37]
	v_add_f64 v[8:9], v[30:31], v[8:9]
	v_mul_f64 v[30:31], v[234:235], s[20:21]
	v_accvgpr_write_b32 a77, v37
	v_accvgpr_write_b32 a81, v31
	s_mov_b32 s42, 0x923c349f
	v_accvgpr_write_b32 a76, v36
	v_mul_f64 v[36:37], v[232:233], s[18:19]
	v_accvgpr_write_b32 a80, v30
	v_fma_f64 v[30:31], v[202:203], s[18:19], -v[30:31]
	s_mov_b32 s43, 0x3feec746
	v_add_f64 v[10:11], v[30:31], v[10:11]
	v_fma_f64 v[30:31], s[20:21], v[248:249], v[36:37]
	s_mov_b32 s40, 0xc61f0d01
	v_add_f64 v[12:13], v[30:31], v[12:13]
	v_mul_f64 v[30:31], v[234:235], s[42:43]
	s_mov_b32 s41, 0xbfd183b1
	v_accvgpr_write_b32 a85, v37
	v_accvgpr_write_b32 a121, v31
	;; [unrolled: 1-line block ×3, first 2 shown]
	v_mul_f64 v[36:37], v[232:233], s[40:41]
	v_accvgpr_write_b32 a120, v30
	v_fma_f64 v[30:31], v[202:203], s[40:41], -v[30:31]
	v_add_f64 v[14:15], v[30:31], v[14:15]
	v_accvgpr_write_b32 a129, v37
	v_fma_f64 v[30:31], s[42:43], v[248:249], v[36:37]
	v_accvgpr_write_b32 a128, v36
	v_add_f64 v[36:37], v[30:31], v[28:29]
	v_add_f64 v[30:31], v[150:151], -v[162:163]
	s_mov_b32 s49, 0xbfeec746
	s_mov_b32 s48, s42
	v_mul_f64 v[38:39], v[30:31], s[48:49]
	v_add_f64 v[200:201], v[148:149], v[160:161]
	v_add_f64 v[28:29], v[150:151], v[162:163]
	v_accvgpr_write_b32 a79, v39
	v_add_f64 v[204:205], v[148:149], -v[160:161]
	v_mul_f64 v[40:41], v[28:29], s[40:41]
	v_accvgpr_write_b32 a78, v38
	v_fma_f64 v[38:39], v[200:201], s[40:41], -v[38:39]
	s_mov_b32 s50, 0x4363dd80
	v_add_f64 v[0:1], v[38:39], v[0:1]
	v_fma_f64 v[38:39], s[48:49], v[204:205], v[40:41]
	s_mov_b32 s51, 0x3fe0d888
	v_add_f64 v[8:9], v[38:39], v[8:9]
	s_mov_b32 s46, 0x910ea3b9
	v_mul_f64 v[38:39], v[30:31], s[50:51]
	v_accvgpr_write_b32 a83, v41
	s_mov_b32 s47, 0xbfeb34fa
	v_accvgpr_write_b32 a93, v39
	v_accvgpr_write_b32 a82, v40
	v_mul_f64 v[40:41], v[28:29], s[46:47]
	v_accvgpr_write_b32 a92, v38
	v_fma_f64 v[38:39], v[200:201], s[46:47], -v[38:39]
	v_add_f64 v[10:11], v[38:39], v[10:11]
	v_fma_f64 v[38:39], s[50:51], v[204:205], v[40:41]
	s_mov_b32 s59, 0x3fe58eea
	s_mov_b32 s58, s36
	v_accvgpr_write_b32 a101, v41
	v_add_f64 v[12:13], v[38:39], v[12:13]
	v_mul_f64 v[38:39], v[30:31], s[58:59]
	v_accvgpr_write_b32 a100, v40
	v_mul_f64 v[40:41], v[28:29], s[16:17]
	v_accvgpr_write_b32 a131, v39
	v_accvgpr_write_b32 a130, v38
	v_fma_f64 v[38:39], v[200:201], s[16:17], -v[38:39]
	v_accvgpr_write_b32 a145, v41
	v_add_f64 v[42:43], v[142:143], -v[158:159]
	v_add_f64 v[14:15], v[38:39], v[14:15]
	v_accvgpr_write_b32 a144, v40
	v_fma_f64 v[38:39], s[58:59], v[204:205], v[40:41]
	v_mul_f64 v[40:41], v[42:43], s[28:29]
	v_add_f64 v[36:37], v[38:39], v[36:37]
	v_add_f64 v[242:243], v[140:141], v[156:157]
	v_add_f64 v[38:39], v[142:143], v[158:159]
	v_accvgpr_write_b32 a89, v41
	v_add_f64 v[254:255], v[140:141], -v[156:157]
	v_mul_f64 v[44:45], v[38:39], s[34:35]
	v_accvgpr_write_b32 a88, v40
	v_fma_f64 v[40:41], v[242:243], s[34:35], -v[40:41]
	v_add_f64 v[0:1], v[40:41], v[0:1]
	v_fma_f64 v[40:41], s[28:29], v[254:255], v[44:45]
	v_add_f64 v[8:9], v[40:41], v[8:9]
	v_mul_f64 v[40:41], v[42:43], s[42:43]
	v_accvgpr_write_b32 a95, v45
	v_accvgpr_write_b32 a103, v41
	;; [unrolled: 1-line block ×3, first 2 shown]
	v_mul_f64 v[44:45], v[38:39], s[40:41]
	v_accvgpr_write_b32 a102, v40
	v_fma_f64 v[40:41], v[242:243], s[40:41], -v[40:41]
	v_add_f64 v[40:41], v[40:41], v[10:11]
	v_fma_f64 v[10:11], s[42:43], v[254:255], v[44:45]
	v_accvgpr_write_b32 a115, v45
	v_add_f64 v[12:13], v[10:11], v[12:13]
	v_mul_f64 v[10:11], v[42:43], s[30:31]
	v_accvgpr_write_b32 a114, v44
	v_mul_f64 v[44:45], v[38:39], s[0:1]
	v_accvgpr_write_b32 a135, v11
	v_accvgpr_write_b32 a134, v10
	v_fma_f64 v[10:11], v[242:243], s[0:1], -v[10:11]
	v_accvgpr_write_b32 a149, v45
	s_mov_b32 s55, 0xbfe0d888
	s_mov_b32 s54, s50
	v_add_f64 v[212:213], v[138:139], -v[154:155]
	v_add_f64 v[14:15], v[10:11], v[14:15]
	v_accvgpr_write_b32 a148, v44
	v_fma_f64 v[10:11], s[30:31], v[254:255], v[44:45]
	v_mul_f64 v[44:45], v[212:213], s[54:55]
	v_add_f64 v[36:37], v[10:11], v[36:37]
	v_add_f64 v[206:207], v[136:137], v[152:153]
	;; [unrolled: 1-line block ×3, first 2 shown]
	v_accvgpr_write_b32 a99, v45
	v_add_f64 v[112:113], v[136:137], -v[152:153]
	v_mul_f64 v[114:115], v[10:11], s[46:47]
	v_accvgpr_write_b32 a98, v44
	v_fma_f64 v[44:45], v[206:207], s[46:47], -v[44:45]
	v_add_f64 v[44:45], v[44:45], v[0:1]
	v_fma_f64 v[0:1], s[54:55], v[112:113], v[114:115]
	s_mov_b32 s57, 0x3feca52d
	s_mov_b32 s56, s22
	v_add_f64 v[184:185], v[0:1], v[8:9]
	v_mul_f64 v[0:1], v[212:213], s[56:57]
	v_accvgpr_write_b32 a117, v1
	v_mul_f64 v[8:9], v[10:11], s[6:7]
	v_accvgpr_write_b32 a116, v0
	v_fma_f64 v[0:1], v[206:207], s[6:7], -v[0:1]
	v_add_f64 v[40:41], v[0:1], v[40:41]
	v_fma_f64 v[0:1], s[56:57], v[112:113], v[8:9]
	v_accvgpr_write_b32 a125, v9
	v_add_f64 v[12:13], v[0:1], v[12:13]
	v_mul_f64 v[0:1], v[212:213], s[24:25]
	v_accvgpr_write_b32 a124, v8
	v_mul_f64 v[8:9], v[10:11], s[26:27]
	v_accvgpr_write_b32 a147, v1
	v_accvgpr_write_b32 a146, v0
	v_fma_f64 v[0:1], v[206:207], s[26:27], -v[0:1]
	v_accvgpr_write_b32 a159, v9
	v_add_f64 v[14:15], v[0:1], v[14:15]
	v_accvgpr_write_b32 a158, v8
	v_fma_f64 v[0:1], s[24:25], v[112:113], v[8:9]
	v_add_f64 v[8:9], v[126:127], -v[166:167]
	v_accvgpr_write_b32 a106, v114
	v_mul_f64 v[186:187], v[8:9], s[20:21]
	v_accvgpr_write_b32 a107, v115
	v_add_f64 v[114:115], v[124:125], v[164:165]
	v_add_f64 v[218:219], v[126:127], v[166:167]
	v_accvgpr_write_b32 a112, v186
	v_add_f64 v[36:37], v[0:1], v[36:37]
	v_add_f64 v[0:1], v[124:125], -v[164:165]
	v_mul_f64 v[188:189], v[218:219], s[18:19]
	v_accvgpr_write_b32 a113, v187
	v_fma_f64 v[186:187], v[114:115], s[18:19], -v[186:187]
	s_mov_b32 s45, 0x3fd71e95
	s_mov_b32 s44, s30
	v_add_f64 v[192:193], v[186:187], v[44:45]
	v_fma_f64 v[44:45], s[20:21], v[0:1], v[188:189]
	v_add_f64 v[194:195], v[44:45], v[184:185]
	v_mul_f64 v[44:45], v[8:9], s[44:45]
	v_accvgpr_write_b32 a127, v45
	v_mul_f64 v[186:187], v[218:219], s[0:1]
	v_accvgpr_write_b32 a126, v44
	v_fma_f64 v[44:45], v[114:115], s[0:1], -v[44:45]
	v_add_f64 v[184:185], v[44:45], v[40:41]
	v_accvgpr_write_b32 a132, v186
	v_fma_f64 v[40:41], s[44:45], v[0:1], v[186:187]
	v_accvgpr_write_b32 a133, v187
	v_add_f64 v[186:187], v[40:41], v[12:13]
	v_mul_f64 v[12:13], v[8:9], s[54:55]
	v_accvgpr_write_b32 a153, v13
	v_accvgpr_write_b32 a118, v188
	v_mul_f64 v[40:41], v[218:219], s[46:47]
	v_accvgpr_write_b32 a152, v12
	v_fma_f64 v[12:13], v[114:115], s[46:47], -v[12:13]
	v_accvgpr_write_b32 a119, v189
	v_add_f64 v[188:189], v[12:13], v[14:15]
	v_fma_f64 v[12:13], s[54:55], v[0:1], v[40:41]
	v_add_f64 v[190:191], v[12:13], v[36:37]
	v_mul_f64 v[12:13], v[226:227], s[20:21]
	v_accvgpr_write_b32 a173, v13
	v_accvgpr_write_b32 a172, v12
	v_fma_f64 v[12:13], v[252:253], s[18:19], -v[12:13]
	v_add_f64 v[4:5], v[12:13], v[4:5]
	v_mul_f64 v[12:13], v[6:7], s[18:19]
	v_accvgpr_write_b32 a185, v13
	v_add_f64 v[2:3], v[134:135], v[2:3]
	v_accvgpr_write_b32 a184, v12
	v_fma_f64 v[12:13], s[20:21], v[244:245], v[12:13]
	v_add_f64 v[2:3], v[12:13], v[2:3]
	v_mul_f64 v[12:13], v[230:231], s[42:43]
	v_accvgpr_write_b32 a179, v13
	v_accvgpr_write_b32 a178, v12
	v_fma_f64 v[12:13], v[240:241], s[40:41], -v[12:13]
	v_add_f64 v[12:13], v[12:13], v[4:5]
	v_mul_f64 v[4:5], v[210:211], s[40:41]
	v_accvgpr_write_b32 a187, v5
	v_accvgpr_write_b32 a186, v4
	v_fma_f64 v[14:15], s[42:43], v[246:247], v[4:5]
	v_mul_f64 v[4:5], v[234:235], s[44:45]
	v_add_f64 v[2:3], v[14:15], v[2:3]
	v_fma_f64 v[14:15], v[202:203], s[0:1], -v[4:5]
	v_add_f64 v[14:15], v[14:15], v[12:13]
	v_mul_f64 v[12:13], v[232:233], s[0:1]
	v_fma_f64 v[36:37], s[44:45], v[248:249], v[12:13]
	v_add_f64 v[2:3], v[36:37], v[2:3]
	v_mul_f64 v[36:37], v[30:31], s[22:23]
	v_accvgpr_write_b32 a183, v37
	v_accvgpr_write_b32 a182, v36
	v_fma_f64 v[36:37], v[200:201], s[6:7], -v[36:37]
	v_accvgpr_write_b32 a167, v41
	v_add_f64 v[14:15], v[36:37], v[14:15]
	v_mul_f64 v[36:37], v[28:29], s[6:7]
	v_accvgpr_write_b32 a166, v40
	v_fma_f64 v[40:41], s[22:23], v[204:205], v[36:37]
	v_add_f64 v[40:41], v[40:41], v[2:3]
	v_mul_f64 v[2:3], v[42:43], s[54:55]
	v_fma_f64 v[44:45], v[242:243], s[46:47], -v[2:3]
	v_mul_f64 v[216:217], v[38:39], s[46:47]
	s_mov_b32 s61, 0x3fe9895b
	s_mov_b32 s60, s28
	v_add_f64 v[14:15], v[44:45], v[14:15]
	v_fma_f64 v[44:45], s[54:55], v[254:255], v[216:217]
	v_mul_f64 v[214:215], v[212:213], s[60:61]
	v_add_f64 v[44:45], v[44:45], v[40:41]
	v_fma_f64 v[40:41], v[206:207], s[34:35], -v[214:215]
	v_add_f64 v[196:197], v[40:41], v[14:15]
	v_mul_f64 v[40:41], v[10:11], s[34:35]
	v_fma_f64 v[14:15], s[60:61], v[112:113], v[40:41]
	v_add_f64 v[198:199], v[14:15], v[44:45]
	v_mul_f64 v[14:15], v[8:9], s[58:59]
	v_fma_f64 v[44:45], v[114:115], s[16:17], -v[14:15]
	v_add_f64 v[196:197], v[44:45], v[196:197]
	v_mul_f64 v[44:45], v[218:219], s[16:17]
	v_fma_f64 v[220:221], s[58:59], v[0:1], v[44:45]
	v_add_f64 v[198:199], v[220:221], v[198:199]
	s_barrier
	s_and_saveexec_b64 s[38:39], s[4:5]
	s_cbranch_execz .LBB0_17
; %bb.16:
	v_mul_f64 v[220:221], v[238:239], s[20:21]
	v_accvgpr_write_b32 a2, v222
	v_fma_f64 v[222:223], s[18:19], v[228:229], v[220:221]
	v_accvgpr_write_b32 a0, v208
	v_mul_f64 v[208:209], v[244:245], s[44:45]
	v_accvgpr_write_b32 a199, v3
	v_add_f64 v[222:223], v[134:135], v[222:223]
	v_accvgpr_write_b32 a198, v2
	v_fma_f64 v[2:3], s[0:1], v[6:7], v[208:209]
	v_add_f64 v[2:3], v[2:3], v[222:223]
	v_mul_f64 v[222:223], v[246:247], s[54:55]
	v_accvgpr_write_b32 a151, v17
	v_accvgpr_write_b32 a150, v16
	v_fma_f64 v[16:17], s[46:47], v[210:211], v[222:223]
	v_add_f64 v[2:3], v[16:17], v[2:3]
	v_mul_f64 v[16:17], v[248:249], s[58:59]
	v_accvgpr_write_b32 a157, v19
	;; [unrolled: 5-line block ×6, first 2 shown]
	v_accvgpr_write_b32 a171, v33
	v_accvgpr_write_b32 a164, v26
	v_fma_f64 v[26:27], v[250:251], s[18:19], -v[24:25]
	v_accvgpr_write_b32 a170, v32
	v_mul_f64 v[32:33], v[226:227], s[44:45]
	v_accvgpr_write_b32 a161, v35
	v_add_f64 v[26:27], v[132:133], v[26:27]
	v_accvgpr_write_b32 a160, v34
	v_fma_f64 v[34:35], v[252:253], s[0:1], -v[32:33]
	v_add_f64 v[26:27], v[34:35], v[26:27]
	v_mul_f64 v[34:35], v[230:231], s[54:55]
	v_accvgpr_write_b32 a201, v5
	v_accvgpr_write_b32 a200, v4
	v_fma_f64 v[4:5], v[240:241], s[46:47], -v[34:35]
	v_add_f64 v[4:5], v[4:5], v[26:27]
	v_mul_f64 v[26:27], v[234:235], s[58:59]
	v_accvgpr_write_b32 a20, v48
	v_accvgpr_write_b32 a21, v49
	;; [unrolled: 1-line block ×4, first 2 shown]
	v_fma_f64 v[48:49], v[202:203], s[16:17], -v[26:27]
	v_add_f64 v[4:5], v[48:49], v[4:5]
	v_mul_f64 v[48:49], v[30:31], s[28:29]
	v_fma_f64 v[50:51], v[200:201], s[34:35], -v[48:49]
	v_add_f64 v[4:5], v[50:51], v[4:5]
	v_mul_f64 v[50:51], v[42:43], s[56:57]
	v_accvgpr_write_b32 a181, v53
	v_accvgpr_write_b32 a180, v52
	v_fma_f64 v[52:53], v[242:243], s[6:7], -v[50:51]
	v_add_f64 v[4:5], v[52:53], v[4:5]
	v_mul_f64 v[52:53], v[212:213], s[48:49]
	v_accvgpr_write_b32 a24, v54
	v_accvgpr_write_b32 a25, v55
	;; [unrolled: 1-line block ×4, first 2 shown]
	v_fma_f64 v[54:55], v[206:207], s[40:41], -v[52:53]
	s_mov_b32 s63, 0x3fefdd0d
	s_mov_b32 s62, s24
	v_add_f64 v[4:5], v[54:55], v[4:5]
	v_mul_f64 v[54:55], v[0:1], s[62:63]
	v_fma_f64 v[56:57], s[26:27], v[218:219], v[54:55]
	v_accvgpr_write_b32 a143, v63
	v_accvgpr_write_b32 a142, v62
	;; [unrolled: 1-line block ×4, first 2 shown]
	v_add_f64 v[62:63], v[56:57], v[2:3]
	v_mul_f64 v[2:3], v[8:9], s[62:63]
	v_fma_f64 v[56:57], v[114:115], s[26:27], -v[2:3]
	v_add_f64 v[60:61], v[56:57], v[4:5]
	v_fma_f64 v[56:57], v[228:229], s[18:19], -v[220:221]
	v_fma_f64 v[4:5], v[6:7], s[0:1], -v[208:209]
	v_add_f64 v[56:57], v[134:135], v[56:57]
	v_add_f64 v[4:5], v[4:5], v[56:57]
	v_fma_f64 v[56:57], v[210:211], s[46:47], -v[222:223]
	v_add_f64 v[4:5], v[56:57], v[4:5]
	v_fma_f64 v[16:17], v[232:233], s[16:17], -v[16:17]
	;; [unrolled: 2-line block ×5, first 2 shown]
	v_fmac_f64_e32 v[24:25], s[18:19], v[250:251]
	v_add_f64 v[4:5], v[16:17], v[4:5]
	v_fmac_f64_e32 v[32:33], s[0:1], v[252:253]
	v_add_f64 v[16:17], v[132:133], v[24:25]
	v_add_f64 v[16:17], v[32:33], v[16:17]
	v_fmac_f64_e32 v[34:35], s[46:47], v[240:241]
	v_add_f64 v[16:17], v[34:35], v[16:17]
	v_fmac_f64_e32 v[26:27], s[16:17], v[202:203]
	;; [unrolled: 2-line block ×4, first 2 shown]
	v_accvgpr_write_b32 a139, v63
	v_add_f64 v[16:17], v[50:51], v[16:17]
	v_fmac_f64_e32 v[52:53], s[40:41], v[206:207]
	v_fma_f64 v[18:19], v[218:219], s[26:27], -v[54:55]
	v_accvgpr_write_b32 a138, v62
	v_accvgpr_write_b32 a137, v61
	v_accvgpr_write_b32 a136, v60
	v_accvgpr_read_b32 v60, a140
	v_add_f64 v[16:17], v[52:53], v[16:17]
	v_add_f64 v[4:5], v[18:19], v[4:5]
	v_fmac_f64_e32 v[2:3], s[26:27], v[114:115]
	v_accvgpr_read_b32 v61, a141
	v_accvgpr_read_b32 v62, a142
	;; [unrolled: 1-line block ×3, first 2 shown]
	v_add_f64 v[2:3], v[2:3], v[16:17]
	v_accvgpr_write_b32 a143, v5
	v_accvgpr_write_b32 a142, v4
	;; [unrolled: 1-line block ×4, first 2 shown]
	v_mul_f64 v[2:3], v[238:239], s[54:55]
	v_fma_f64 v[4:5], s[46:47], v[228:229], v[2:3]
	v_mul_f64 v[16:17], v[244:245], s[56:57]
	v_add_f64 v[4:5], v[134:135], v[4:5]
	v_fma_f64 v[18:19], s[6:7], v[6:7], v[16:17]
	v_add_f64 v[4:5], v[18:19], v[4:5]
	v_mul_f64 v[18:19], v[246:247], s[24:25]
	v_fma_f64 v[20:21], s[26:27], v[210:211], v[18:19]
	v_add_f64 v[4:5], v[20:21], v[4:5]
	v_mul_f64 v[20:21], v[248:249], s[60:61]
	;; [unrolled: 3-line block ×6, first 2 shown]
	v_fma_f64 v[34:35], v[250:251], s[46:47], -v[32:33]
	v_mul_f64 v[48:49], v[226:227], s[56:57]
	v_add_f64 v[34:35], v[132:133], v[34:35]
	v_fma_f64 v[50:51], v[252:253], s[6:7], -v[48:49]
	v_add_f64 v[34:35], v[50:51], v[34:35]
	v_mul_f64 v[50:51], v[230:231], s[24:25]
	v_fma_f64 v[2:3], v[228:229], s[46:47], -v[2:3]
	v_fma_f64 v[52:53], v[240:241], s[26:27], -v[50:51]
	;; [unrolled: 1-line block ×3, first 2 shown]
	v_add_f64 v[2:3], v[134:135], v[2:3]
	v_add_f64 v[34:35], v[52:53], v[34:35]
	v_mul_f64 v[52:53], v[234:235], s[60:61]
	v_add_f64 v[2:3], v[16:17], v[2:3]
	v_fma_f64 v[16:17], v[210:211], s[26:27], -v[18:19]
	v_fma_f64 v[54:55], v[202:203], s[34:35], -v[52:53]
	v_add_f64 v[2:3], v[16:17], v[2:3]
	v_fma_f64 v[16:17], v[232:233], s[34:35], -v[20:21]
	v_add_f64 v[34:35], v[54:55], v[34:35]
	v_mul_f64 v[54:55], v[30:31], s[30:31]
	v_add_f64 v[2:3], v[16:17], v[2:3]
	v_fma_f64 v[16:17], v[28:29], s[0:1], -v[22:23]
	v_fma_f64 v[56:57], v[200:201], s[0:1], -v[54:55]
	v_add_f64 v[2:3], v[16:17], v[2:3]
	v_fma_f64 v[16:17], v[38:39], s[18:19], -v[24:25]
	v_add_f64 v[34:35], v[56:57], v[34:35]
	v_mul_f64 v[56:57], v[42:43], s[20:21]
	v_accvgpr_write_b32 a193, v59
	v_add_f64 v[2:3], v[16:17], v[2:3]
	v_fma_f64 v[16:17], v[10:11], s[16:17], -v[26:27]
	v_fmac_f64_e32 v[32:33], s[46:47], v[250:251]
	v_accvgpr_write_b32 a192, v58
	v_fma_f64 v[58:59], v[242:243], s[18:19], -v[56:57]
	v_add_f64 v[2:3], v[16:17], v[2:3]
	v_fmac_f64_e32 v[48:49], s[6:7], v[252:253]
	v_add_f64 v[16:17], v[132:133], v[32:33]
	v_add_f64 v[34:35], v[58:59], v[34:35]
	v_mul_f64 v[58:59], v[212:213], s[58:59]
	v_add_f64 v[16:17], v[48:49], v[16:17]
	v_fmac_f64_e32 v[50:51], s[26:27], v[240:241]
	v_fma_f64 v[208:209], v[206:207], s[16:17], -v[58:59]
	v_add_f64 v[16:17], v[50:51], v[16:17]
	v_fmac_f64_e32 v[52:53], s[34:35], v[202:203]
	v_add_f64 v[34:35], v[208:209], v[34:35]
	v_mul_f64 v[208:209], v[0:1], s[48:49]
	v_add_f64 v[16:17], v[52:53], v[16:17]
	v_fmac_f64_e32 v[54:55], s[0:1], v[200:201]
	v_fma_f64 v[220:221], s[40:41], v[218:219], v[208:209]
	v_add_f64 v[16:17], v[54:55], v[16:17]
	v_fmac_f64_e32 v[56:57], s[18:19], v[242:243]
	v_add_f64 v[222:223], v[220:221], v[4:5]
	v_mul_f64 v[4:5], v[8:9], s[48:49]
	v_add_f64 v[16:17], v[56:57], v[16:17]
	v_fmac_f64_e32 v[58:59], s[16:17], v[206:207]
	v_fma_f64 v[18:19], v[218:219], s[40:41], -v[208:209]
	v_fma_f64 v[220:221], v[114:115], s[40:41], -v[4:5]
	v_add_f64 v[16:17], v[58:59], v[16:17]
	v_add_f64 v[18:19], v[18:19], v[2:3]
	v_fmac_f64_e32 v[4:5], s[40:41], v[114:115]
	v_add_f64 v[16:17], v[4:5], v[16:17]
	v_accvgpr_write_b32 a191, v19
	v_mul_f64 v[2:3], v[238:239], s[28:29]
	v_accvgpr_write_b32 a190, v18
	v_accvgpr_write_b32 a189, v17
	;; [unrolled: 1-line block ×3, first 2 shown]
	v_fma_f64 v[4:5], s[34:35], v[228:229], v[2:3]
	v_mul_f64 v[16:17], v[244:245], s[42:43]
	v_add_f64 v[4:5], v[134:135], v[4:5]
	v_fma_f64 v[18:19], s[40:41], v[6:7], v[16:17]
	v_add_f64 v[4:5], v[18:19], v[4:5]
	v_mul_f64 v[18:19], v[246:247], s[30:31]
	v_fma_f64 v[20:21], s[0:1], v[210:211], v[18:19]
	v_add_f64 v[4:5], v[20:21], v[4:5]
	v_mul_f64 v[20:21], v[248:249], s[54:55]
	;; [unrolled: 3-line block ×6, first 2 shown]
	v_add_f64 v[220:221], v[220:221], v[34:35]
	v_fma_f64 v[34:35], v[250:251], s[34:35], -v[32:33]
	v_mul_f64 v[48:49], v[226:227], s[42:43]
	v_add_f64 v[34:35], v[132:133], v[34:35]
	v_fma_f64 v[50:51], v[252:253], s[40:41], -v[48:49]
	v_add_f64 v[34:35], v[50:51], v[34:35]
	v_mul_f64 v[50:51], v[230:231], s[30:31]
	v_fma_f64 v[52:53], v[240:241], s[0:1], -v[50:51]
	v_add_f64 v[34:35], v[52:53], v[34:35]
	v_mul_f64 v[52:53], v[234:235], s[54:55]
	v_fma_f64 v[54:55], v[202:203], s[46:47], -v[52:53]
	v_fma_f64 v[2:3], v[228:229], s[34:35], -v[2:3]
	v_add_f64 v[34:35], v[54:55], v[34:35]
	v_mul_f64 v[54:55], v[30:31], s[62:63]
	v_fma_f64 v[16:17], v[6:7], s[40:41], -v[16:17]
	v_add_f64 v[2:3], v[134:135], v[2:3]
	v_fma_f64 v[56:57], v[200:201], s[26:27], -v[54:55]
	v_add_f64 v[2:3], v[16:17], v[2:3]
	v_fma_f64 v[16:17], v[210:211], s[0:1], -v[18:19]
	v_add_f64 v[34:35], v[56:57], v[34:35]
	v_mul_f64 v[56:57], v[42:43], s[36:37]
	v_add_f64 v[2:3], v[16:17], v[2:3]
	v_fma_f64 v[16:17], v[232:233], s[46:47], -v[20:21]
	v_fma_f64 v[58:59], v[242:243], s[16:17], -v[56:57]
	v_add_f64 v[2:3], v[16:17], v[2:3]
	v_fma_f64 v[16:17], v[28:29], s[26:27], -v[22:23]
	v_add_f64 v[34:35], v[58:59], v[34:35]
	v_mul_f64 v[58:59], v[212:213], s[20:21]
	v_add_f64 v[2:3], v[16:17], v[2:3]
	v_fma_f64 v[16:17], v[38:39], s[16:17], -v[24:25]
	v_fma_f64 v[208:209], v[206:207], s[18:19], -v[58:59]
	v_add_f64 v[2:3], v[16:17], v[2:3]
	v_fma_f64 v[16:17], v[10:11], s[18:19], -v[26:27]
	v_fmac_f64_e32 v[32:33], s[34:35], v[250:251]
	v_accvgpr_write_b32 a174, v220
	v_add_f64 v[34:35], v[208:209], v[34:35]
	v_mul_f64 v[208:209], v[0:1], s[56:57]
	v_add_f64 v[2:3], v[16:17], v[2:3]
	v_fmac_f64_e32 v[48:49], s[40:41], v[252:253]
	v_add_f64 v[16:17], v[132:133], v[32:33]
	v_accvgpr_write_b32 a175, v221
	v_accvgpr_write_b32 a176, v222
	;; [unrolled: 1-line block ×3, first 2 shown]
	v_fma_f64 v[220:221], s[6:7], v[218:219], v[208:209]
	v_add_f64 v[16:17], v[48:49], v[16:17]
	v_fmac_f64_e32 v[50:51], s[0:1], v[240:241]
	v_add_f64 v[222:223], v[220:221], v[4:5]
	v_mul_f64 v[4:5], v[8:9], s[56:57]
	v_add_f64 v[16:17], v[50:51], v[16:17]
	v_fmac_f64_e32 v[52:53], s[46:47], v[202:203]
	v_fma_f64 v[220:221], v[114:115], s[6:7], -v[4:5]
	v_add_f64 v[16:17], v[52:53], v[16:17]
	v_fmac_f64_e32 v[54:55], s[26:27], v[200:201]
	v_add_f64 v[220:221], v[220:221], v[34:35]
	v_add_f64 v[16:17], v[54:55], v[16:17]
	v_fmac_f64_e32 v[56:57], s[16:17], v[242:243]
	v_accvgpr_write_b32 a194, v220
	v_add_f64 v[16:17], v[56:57], v[16:17]
	v_fmac_f64_e32 v[58:59], s[18:19], v[206:207]
	v_fma_f64 v[18:19], v[218:219], s[6:7], -v[208:209]
	v_accvgpr_write_b32 a195, v221
	v_accvgpr_write_b32 a196, v222
	v_accvgpr_write_b32 a197, v223
	v_add_f64 v[16:17], v[58:59], v[16:17]
	v_add_f64 v[222:223], v[18:19], v[2:3]
	v_fmac_f64_e32 v[4:5], s[6:7], v[114:115]
	v_mul_f64 v[2:3], v[238:239], s[48:49]
	v_add_f64 v[220:221], v[4:5], v[16:17]
	v_fma_f64 v[4:5], s[40:41], v[228:229], v[2:3]
	v_mul_f64 v[16:17], v[244:245], s[50:51]
	v_add_f64 v[4:5], v[134:135], v[4:5]
	v_fma_f64 v[18:19], s[46:47], v[6:7], v[16:17]
	v_add_f64 v[4:5], v[18:19], v[4:5]
	v_mul_f64 v[18:19], v[246:247], s[58:59]
	v_fma_f64 v[20:21], s[16:17], v[210:211], v[18:19]
	v_add_f64 v[4:5], v[20:21], v[4:5]
	v_mul_f64 v[20:21], v[248:249], s[22:23]
	;; [unrolled: 3-line block ×5, first 2 shown]
	v_fma_f64 v[32:33], s[0:1], v[10:11], v[26:27]
	v_mul_f64 v[34:35], v[224:225], s[48:49]
	v_add_f64 v[4:5], v[32:33], v[4:5]
	v_mul_f64 v[32:33], v[226:227], s[50:51]
	v_fma_f64 v[48:49], v[250:251], s[40:41], -v[34:35]
	v_add_f64 v[48:49], v[132:133], v[48:49]
	v_fma_f64 v[50:51], v[252:253], s[46:47], -v[32:33]
	v_fma_f64 v[2:3], v[228:229], s[40:41], -v[2:3]
	v_add_f64 v[48:49], v[50:51], v[48:49]
	v_mul_f64 v[50:51], v[230:231], s[58:59]
	v_fma_f64 v[6:7], v[6:7], s[46:47], -v[16:17]
	v_add_f64 v[2:3], v[134:135], v[2:3]
	v_fma_f64 v[52:53], v[240:241], s[16:17], -v[50:51]
	v_fma_f64 v[18:19], v[210:211], s[16:17], -v[18:19]
	v_add_f64 v[2:3], v[6:7], v[2:3]
	v_add_f64 v[48:49], v[52:53], v[48:49]
	v_mul_f64 v[52:53], v[234:235], s[22:23]
	v_fma_f64 v[20:21], v[232:233], s[6:7], -v[20:21]
	v_add_f64 v[2:3], v[18:19], v[2:3]
	v_fma_f64 v[54:55], v[202:203], s[6:7], -v[52:53]
	v_mul_f64 v[30:31], v[30:31], s[20:21]
	v_fma_f64 v[22:23], v[28:29], s[18:19], -v[22:23]
	v_add_f64 v[2:3], v[20:21], v[2:3]
	v_add_f64 v[48:49], v[54:55], v[48:49]
	v_fma_f64 v[54:55], v[200:201], s[18:19], -v[30:31]
	v_mul_f64 v[42:43], v[42:43], s[62:63]
	v_fma_f64 v[24:25], v[38:39], s[26:27], -v[24:25]
	v_add_f64 v[2:3], v[22:23], v[2:3]
	v_add_f64 v[48:49], v[54:55], v[48:49]
	v_fma_f64 v[54:55], v[242:243], s[26:27], -v[42:43]
	v_fma_f64 v[10:11], v[10:11], s[0:1], -v[26:27]
	v_add_f64 v[2:3], v[24:25], v[2:3]
	v_add_f64 v[48:49], v[54:55], v[48:49]
	v_mul_f64 v[54:55], v[212:213], s[30:31]
	v_add_f64 v[2:3], v[10:11], v[2:3]
	v_fmac_f64_e32 v[34:35], s[40:41], v[250:251]
	v_mul_f64 v[10:11], v[248:249], s[44:45]
	v_accvgpr_read_b32 v16, a186
	v_fma_f64 v[56:57], v[206:207], s[0:1], -v[54:55]
	v_fmac_f64_e32 v[32:33], s[46:47], v[252:253]
	v_add_f64 v[6:7], v[132:133], v[34:35]
	v_add_f64 v[10:11], v[12:13], -v[10:11]
	v_mul_f64 v[12:13], v[246:247], s[42:43]
	v_accvgpr_read_b32 v17, a187
	v_accvgpr_read_b32 v18, a184
	v_add_f64 v[48:49], v[56:57], v[48:49]
	v_mul_f64 v[56:57], v[0:1], s[28:29]
	v_add_f64 v[6:7], v[32:33], v[6:7]
	v_fmac_f64_e32 v[50:51], s[16:17], v[240:241]
	v_add_f64 v[12:13], v[16:17], -v[12:13]
	v_mul_f64 v[16:17], v[244:245], s[20:21]
	v_accvgpr_read_b32 v19, a185
	v_accvgpr_read_b32 v20, a110
	v_fma_f64 v[58:59], s[34:35], v[218:219], v[56:57]
	v_add_f64 v[6:7], v[50:51], v[6:7]
	v_fmac_f64_e32 v[52:53], s[6:7], v[202:203]
	v_add_f64 v[16:17], v[18:19], -v[16:17]
	v_mul_f64 v[18:19], v[238:239], s[24:25]
	v_accvgpr_read_b32 v21, a111
	v_add_f64 v[226:227], v[58:59], v[4:5]
	v_mul_f64 v[4:5], v[8:9], s[28:29]
	v_add_f64 v[6:7], v[52:53], v[6:7]
	v_fmac_f64_e32 v[30:31], s[18:19], v[200:201]
	v_add_f64 v[18:19], v[20:21], -v[18:19]
	v_fma_f64 v[8:9], v[114:115], s[34:35], -v[4:5]
	v_add_f64 v[6:7], v[30:31], v[6:7]
	v_fmac_f64_e32 v[42:43], s[26:27], v[242:243]
	v_add_f64 v[18:19], v[134:135], v[18:19]
	v_add_f64 v[224:225], v[8:9], v[48:49]
	v_fma_f64 v[8:9], v[218:219], s[34:35], -v[56:57]
	v_add_f64 v[6:7], v[42:43], v[6:7]
	v_fmac_f64_e32 v[54:55], s[0:1], v[206:207]
	v_add_f64 v[16:17], v[16:17], v[18:19]
	v_add_f64 v[6:7], v[54:55], v[6:7]
	;; [unrolled: 1-line block ×3, first 2 shown]
	v_fmac_f64_e32 v[4:5], s[34:35], v[114:115]
	v_mul_f64 v[8:9], v[204:205], s[22:23]
	v_add_f64 v[12:13], v[12:13], v[16:17]
	v_add_f64 v[228:229], v[4:5], v[6:7]
	v_mul_f64 v[6:7], v[254:255], s[54:55]
	v_add_f64 v[8:9], v[36:37], -v[8:9]
	v_add_f64 v[10:11], v[10:11], v[12:13]
	v_mul_f64 v[4:5], v[112:113], s[60:61]
	v_add_f64 v[6:7], v[216:217], -v[6:7]
	v_add_f64 v[8:9], v[8:9], v[10:11]
	v_add_f64 v[4:5], v[40:41], -v[4:5]
	v_add_f64 v[6:7], v[6:7], v[8:9]
	v_add_f64 v[4:5], v[4:5], v[6:7]
	v_mul_f64 v[6:7], v[114:115], s[16:17]
	v_accvgpr_read_b32 v12, a198
	v_add_f64 v[6:7], v[6:7], v[14:15]
	v_mul_f64 v[10:11], v[242:243], s[46:47]
	v_accvgpr_read_b32 v13, a199
	v_accvgpr_read_b32 v14, a182
	v_add_f64 v[10:11], v[10:11], v[12:13]
	v_mul_f64 v[12:13], v[200:201], s[6:7]
	v_accvgpr_read_b32 v15, a183
	v_accvgpr_read_b32 v16, a200
	v_add_f64 v[12:13], v[12:13], v[14:15]
	v_mul_f64 v[14:15], v[202:203], s[0:1]
	v_accvgpr_read_b32 v17, a201
	v_accvgpr_read_b32 v18, a178
	v_add_f64 v[14:15], v[14:15], v[16:17]
	v_mul_f64 v[16:17], v[240:241], s[40:41]
	v_accvgpr_read_b32 v19, a179
	v_accvgpr_read_b32 v20, a172
	v_add_f64 v[16:17], v[16:17], v[18:19]
	v_mul_f64 v[18:19], v[252:253], s[18:19]
	v_accvgpr_read_b32 v21, a173
	v_accvgpr_read_b32 v22, a96
	v_add_f64 v[18:19], v[18:19], v[20:21]
	v_mul_f64 v[20:21], v[250:251], s[26:27]
	v_accvgpr_read_b32 v23, a97
	v_add_f64 v[20:21], v[20:21], v[22:23]
	v_add_f64 v[20:21], v[132:133], v[20:21]
	;; [unrolled: 1-line block ×5, first 2 shown]
	v_mul_f64 v[2:3], v[0:1], s[58:59]
	v_mul_f64 v[8:9], v[206:207], s[34:35]
	v_add_f64 v[12:13], v[12:13], v[14:15]
	v_add_f64 v[2:3], v[44:45], -v[2:3]
	v_add_f64 v[8:9], v[8:9], v[214:215]
	v_add_f64 v[10:11], v[10:11], v[12:13]
	;; [unrolled: 1-line block ×4, first 2 shown]
	v_accvgpr_read_b32 v4, a166
	v_add_f64 v[232:233], v[6:7], v[8:9]
	v_mul_f64 v[2:3], v[0:1], s[54:55]
	v_accvgpr_read_b32 v5, a167
	v_accvgpr_read_b32 v6, a158
	v_add_f64 v[2:3], v[4:5], -v[2:3]
	v_mul_f64 v[4:5], v[112:113], s[24:25]
	v_accvgpr_read_b32 v7, a159
	v_accvgpr_read_b32 v8, a148
	v_add_f64 v[4:5], v[6:7], -v[4:5]
	;; [unrolled: 4-line block ×7, first 2 shown]
	v_mul_f64 v[16:17], v[238:239], s[22:23]
	v_accvgpr_read_b32 v19, a87
	v_add_f64 v[16:17], v[18:19], -v[16:17]
	v_add_f64 v[16:17], v[134:135], v[16:17]
	v_add_f64 v[14:15], v[14:15], v[16:17]
	;; [unrolled: 1-line block ×6, first 2 shown]
	v_accvgpr_read_b32 v28, a152
	v_add_f64 v[4:5], v[4:5], v[6:7]
	v_mul_f64 v[6:7], v[114:115], s[46:47]
	v_accvgpr_read_b32 v29, a153
	v_accvgpr_read_b32 v30, a146
	v_add_f64 v[6:7], v[6:7], v[28:29]
	v_mul_f64 v[28:29], v[206:207], s[26:27]
	v_accvgpr_read_b32 v31, a147
	;; [unrolled: 4-line block ×3, first 2 shown]
	v_accvgpr_read_b32 v34, a130
	v_accvgpr_read_b32 v48, a72
	v_mul_f64 v[22:23], v[250:251], s[6:7]
	v_add_f64 v[30:31], v[30:31], v[32:33]
	v_mul_f64 v[32:33], v[200:201], s[16:17]
	v_accvgpr_read_b32 v35, a131
	v_accvgpr_read_b32 v36, a120
	;; [unrolled: 1-line block ×4, first 2 shown]
	v_mul_f64 v[26:27], v[252:253], s[34:35]
	v_add_f64 v[32:33], v[32:33], v[34:35]
	v_mul_f64 v[34:35], v[202:203], s[40:41]
	v_accvgpr_read_b32 v37, a121
	v_accvgpr_read_b32 v38, a104
	;; [unrolled: 1-line block ×3, first 2 shown]
	v_add_f64 v[22:23], v[22:23], v[48:49]
	v_add_f64 v[34:35], v[34:35], v[36:37]
	v_mul_f64 v[36:37], v[240:241], s[18:19]
	v_accvgpr_read_b32 v39, a105
	v_add_f64 v[26:27], v[26:27], v[40:41]
	v_add_f64 v[22:23], v[132:133], v[22:23]
	;; [unrolled: 1-line block ×9, first 2 shown]
	v_mul_f64 v[28:29], v[206:207], s[46:47]
	v_add_f64 v[4:5], v[2:3], v[4:5]
	v_add_f64 v[2:3], v[6:7], v[22:23]
	v_mul_f64 v[6:7], v[206:207], s[6:7]
	v_accvgpr_read_b32 v207, a125
	v_mul_f64 v[22:23], v[112:113], s[54:55]
	v_mul_f64 v[112:113], v[112:113], s[56:57]
	v_accvgpr_read_b32 v206, a124
	v_add_f64 v[112:113], v[206:207], -v[112:113]
	v_accvgpr_read_b32 v207, a115
	v_mul_f64 v[36:37], v[200:201], s[40:41]
	v_mul_f64 v[54:55], v[200:201], s[46:47]
	;; [unrolled: 1-line block ×3, first 2 shown]
	v_accvgpr_read_b32 v206, a114
	v_add_f64 v[200:201], v[206:207], -v[200:201]
	v_accvgpr_read_b32 v207, a101
	v_mul_f64 v[56:57], v[204:205], s[50:51]
	v_accvgpr_read_b32 v206, a100
	v_add_f64 v[56:57], v[206:207], -v[56:57]
	v_accvgpr_read_b32 v207, a85
	v_mul_f64 v[52:53], v[248:249], s[20:21]
	;; [unrolled: 4-line block ×5, first 2 shown]
	v_accvgpr_read_b32 v206, a168
	v_add_f64 v[20:21], v[206:207], -v[20:21]
	v_add_f64 v[20:21], v[134:135], v[20:21]
	v_add_f64 v[8:9], v[8:9], v[20:21]
	;; [unrolled: 1-line block ×3, first 2 shown]
	v_accvgpr_read_b32 v44, a116
	v_accvgpr_read_b32 v45, a117
	v_add_f64 v[6:7], v[6:7], v[44:45]
	v_accvgpr_read_b32 v44, a102
	v_mul_f64 v[58:59], v[242:243], s[40:41]
	v_accvgpr_read_b32 v45, a103
	v_add_f64 v[44:45], v[58:59], v[44:45]
	v_accvgpr_read_b32 v58, a80
	v_mul_f64 v[50:51], v[202:203], s[18:19]
	;; [unrolled: 4-line block ×5, first 2 shown]
	v_accvgpr_read_b32 v59, a163
	v_add_f64 v[14:15], v[14:15], v[58:59]
	v_add_f64 v[14:15], v[132:133], v[14:15]
	;; [unrolled: 1-line block ×3, first 2 shown]
	v_accvgpr_read_b32 v52, a92
	v_add_f64 v[12:13], v[12:13], v[14:15]
	v_accvgpr_read_b32 v53, a93
	v_add_f64 v[12:13], v[42:43], v[12:13]
	v_add_f64 v[52:53], v[54:55], v[52:53]
	;; [unrolled: 1-line block ×6, first 2 shown]
	v_accvgpr_read_b32 v12, a118
	v_accvgpr_read_b32 v14, a94
	v_mul_f64 v[48:49], v[202:203], s[26:27]
	v_mul_f64 v[30:31], v[254:255], s[28:29]
	;; [unrolled: 1-line block ×4, first 2 shown]
	v_accvgpr_read_b32 v13, a119
	v_accvgpr_read_b32 v15, a95
	v_add_f64 v[0:1], v[12:13], -v[0:1]
	v_accvgpr_read_b32 v12, a106
	v_add_f64 v[14:15], v[14:15], -v[30:31]
	v_accvgpr_read_b32 v30, a164
	v_mul_f64 v[10:11], v[244:245], s[36:37]
	v_accvgpr_read_b32 v13, a107
	v_accvgpr_read_b32 v31, a165
	v_add_f64 v[12:13], v[12:13], -v[22:23]
	v_accvgpr_read_b32 v22, a76
	v_add_f64 v[10:11], v[30:31], -v[10:11]
	v_accvgpr_read_b32 v30, a156
	v_mul_f64 v[16:17], v[238:239], s[30:31]
	v_mul_f64 v[26:27], v[248:249], s[24:25]
	v_accvgpr_read_b32 v23, a77
	v_accvgpr_read_b32 v31, a157
	v_add_f64 v[22:23], v[22:23], -v[26:27]
	v_accvgpr_read_b32 v26, a192
	v_add_f64 v[16:17], v[30:31], -v[16:17]
	v_mul_f64 v[40:41], v[246:247], s[22:23]
	v_mul_f64 v[34:35], v[204:205], s[48:49]
	v_accvgpr_read_b32 v205, a133
	v_accvgpr_read_b32 v27, a193
	v_add_f64 v[16:17], v[134:135], v[16:17]
	v_accvgpr_read_b32 v204, a132
	v_accvgpr_read_b32 v20, a126
	v_add_f64 v[26:27], v[26:27], -v[40:41]
	v_add_f64 v[10:11], v[10:11], v[16:17]
	v_add_f64 v[202:203], v[204:205], -v[202:203]
	v_mul_f64 v[204:205], v[114:115], s[18:19]
	v_mul_f64 v[114:115], v[114:115], s[0:1]
	v_accvgpr_read_b32 v21, a127
	v_add_f64 v[10:11], v[26:27], v[10:11]
	v_accvgpr_read_b32 v26, a154
	v_mul_f64 v[24:25], v[252:253], s[16:17]
	v_add_f64 v[20:21], v[114:115], v[20:21]
	v_accvgpr_read_b32 v27, a155
	v_add_f64 v[6:7], v[20:21], v[6:7]
	v_accvgpr_read_b32 v20, a82
	;; [unrolled: 2-line block ×3, first 2 shown]
	v_mul_f64 v[18:19], v[250:251], s[0:1]
	v_accvgpr_read_b32 v21, a83
	v_accvgpr_read_b32 v27, a151
	v_add_f64 v[20:21], v[20:21], -v[34:35]
	v_add_f64 v[10:11], v[22:23], v[10:11]
	v_accvgpr_read_b32 v22, a160
	v_add_f64 v[18:19], v[18:19], v[26:27]
	v_mul_f64 v[38:39], v[240:241], s[6:7]
	v_add_f64 v[10:11], v[20:21], v[10:11]
	v_accvgpr_read_b32 v20, a70
	v_accvgpr_read_b32 v23, a161
	v_add_f64 v[18:19], v[132:133], v[18:19]
	v_add_f64 v[10:11], v[14:15], v[10:11]
	v_accvgpr_read_b32 v16, a78
	v_accvgpr_read_b32 v21, a71
	v_add_f64 v[22:23], v[38:39], v[22:23]
	v_add_f64 v[18:19], v[24:25], v[18:19]
	;; [unrolled: 1-line block ×3, first 2 shown]
	v_accvgpr_read_b32 v14, a88
	v_accvgpr_read_b32 v17, a79
	v_add_f64 v[20:21], v[48:49], v[20:21]
	v_add_f64 v[18:19], v[22:23], v[18:19]
	v_mul_f64 v[32:33], v[242:243], s[34:35]
	v_add_f64 v[12:13], v[0:1], v[10:11]
	v_accvgpr_read_b32 v10, a98
	v_accvgpr_read_b32 v15, a89
	v_add_f64 v[16:17], v[36:37], v[16:17]
	v_add_f64 v[18:19], v[20:21], v[18:19]
	v_accvgpr_read_b32 v0, a112
	v_accvgpr_read_b32 v11, a99
	v_add_f64 v[14:15], v[32:33], v[14:15]
	v_add_f64 v[16:17], v[16:17], v[18:19]
	v_accvgpr_read_b32 v1, a113
	v_add_f64 v[10:11], v[28:29], v[10:11]
	v_add_f64 v[14:15], v[14:15], v[16:17]
	v_add_f64 v[0:1], v[204:205], v[0:1]
	v_add_f64 v[10:11], v[10:11], v[14:15]
	v_add_f64 v[10:11], v[0:1], v[10:11]
	v_add_f64 v[0:1], v[134:135], v[118:119]
	v_add_f64 v[0:1], v[0:1], v[122:123]
	v_add_f64 v[0:1], v[0:1], v[130:131]
	v_add_f64 v[0:1], v[0:1], v[146:147]
	v_add_f64 v[0:1], v[0:1], v[150:151]
	v_add_f64 v[0:1], v[0:1], v[142:143]
	v_add_f64 v[0:1], v[0:1], v[138:139]
	v_add_f64 v[0:1], v[0:1], v[126:127]
	v_add_f64 v[0:1], v[0:1], v[166:167]
	v_add_f64 v[0:1], v[0:1], v[154:155]
	v_add_f64 v[0:1], v[0:1], v[158:159]
	v_add_f64 v[0:1], v[0:1], v[162:163]
	v_add_f64 v[0:1], v[0:1], v[178:179]
	v_add_f64 v[0:1], v[0:1], v[182:183]
	v_add_f64 v[0:1], v[0:1], v[174:175]
	v_add_f64 v[30:31], v[0:1], v[170:171]
	v_add_f64 v[0:1], v[132:133], v[116:117]
	v_add_f64 v[0:1], v[0:1], v[120:121]
	v_add_f64 v[0:1], v[0:1], v[128:129]
	v_add_f64 v[0:1], v[0:1], v[144:145]
	v_add_f64 v[0:1], v[0:1], v[148:149]
	v_add_f64 v[0:1], v[0:1], v[140:141]
	v_add_f64 v[0:1], v[0:1], v[136:137]
	v_add_f64 v[0:1], v[0:1], v[124:125]
	v_add_f64 v[0:1], v[0:1], v[164:165]
	v_add_f64 v[0:1], v[0:1], v[152:153]
	v_add_f64 v[0:1], v[0:1], v[156:157]
	v_add_f64 v[0:1], v[0:1], v[160:161]
	v_add_f64 v[0:1], v[0:1], v[176:177]
	v_add_f64 v[0:1], v[0:1], v[180:181]
	v_accvgpr_read_b32 v208, a0
	v_add_f64 v[8:9], v[56:57], v[8:9]
	v_add_f64 v[0:1], v[0:1], v[172:173]
	;; [unrolled: 1-line block ×4, first 2 shown]
	v_mul_lo_u16_e32 v0, 17, v208
	v_add_f64 v[8:9], v[112:113], v[8:9]
	v_accvgpr_read_b32 v57, a27
	v_accvgpr_read_b32 v51, a23
	v_lshlrev_b32_e32 v0, 4, v0
	v_add_f64 v[8:9], v[202:203], v[8:9]
	v_accvgpr_read_b32 v56, a26
	v_accvgpr_read_b32 v55, a25
	v_accvgpr_read_b32 v54, a24
	v_accvgpr_read_b32 v50, a22
	v_accvgpr_read_b32 v49, a21
	v_accvgpr_read_b32 v48, a20
	ds_write_b128 v0, v[28:31]
	ds_write_b128 v0, v[10:13] offset:16
	ds_write_b128 v0, v[6:9] offset:32
	ds_write_b128 v0, v[2:5] offset:48
	ds_write_b128 v0, v[232:235] offset:64
	ds_write_b128 v0, v[228:231] offset:80
	ds_write_b128 v0, v[220:223] offset:96
	v_accvgpr_read_b32 v222, a2
	ds_write_b128 v0, a[188:191] offset:112
	ds_write_b128 v0, a[140:143] offset:128
	;; [unrolled: 1-line block ×10, first 2 shown]
.LBB0_17:
	s_or_b64 exec, exec, s[38:39]
	v_accvgpr_read_b32 v16, a36
	v_accvgpr_read_b32 v18, a38
	;; [unrolled: 1-line block ×3, first 2 shown]
	s_waitcnt lgkmcnt(0)
	s_barrier
	ds_read_b128 v[116:119], v236
	ds_read_b128 v[0:3], v236 offset:2448
	ds_read_b128 v[4:7], v236 offset:4896
	;; [unrolled: 1-line block ×12, first 2 shown]
	v_accvgpr_read_b32 v17, a37
	s_waitcnt lgkmcnt(11)
	v_mul_f64 v[32:33], v[18:19], v[2:3]
	v_fmac_f64_e32 v[32:33], v[16:17], v[0:1]
	v_mul_f64 v[0:1], v[18:19], v[0:1]
	v_fma_f64 v[34:35], v[16:17], v[2:3], -v[0:1]
	v_accvgpr_read_b32 v16, a28
	v_accvgpr_read_b32 v18, a30
	;; [unrolled: 1-line block ×4, first 2 shown]
	s_waitcnt lgkmcnt(10)
	v_mul_f64 v[0:1], v[18:19], v[4:5]
	v_fma_f64 v[52:53], v[16:17], v[6:7], -v[0:1]
	s_waitcnt lgkmcnt(9)
	v_mul_f64 v[0:1], v[56:57], v[8:9]
	v_mul_f64 v[44:45], v[18:19], v[6:7]
	v_fma_f64 v[26:27], v[54:55], v[10:11], -v[0:1]
	s_waitcnt lgkmcnt(8)
	v_mul_f64 v[20:21], v[50:51], v[14:15]
	v_mul_f64 v[0:1], v[50:51], v[12:13]
	v_fmac_f64_e32 v[44:45], v[16:17], v[4:5]
	v_mul_f64 v[24:25], v[56:57], v[10:11]
	v_fmac_f64_e32 v[20:21], v[48:49], v[12:13]
	v_fma_f64 v[16:17], v[48:49], v[14:15], -v[0:1]
	v_add_f64 v[48:49], v[116:117], v[32:33]
	v_fmac_f64_e32 v[24:25], v[54:55], v[8:9]
	v_accvgpr_read_b32 v4, a60
	v_add_f64 v[50:51], v[118:119], v[34:35]
	v_add_f64 v[48:49], v[48:49], v[44:45]
	s_waitcnt lgkmcnt(7)
	v_mul_f64 v[8:9], v[62:63], v[30:31]
	v_mul_f64 v[0:1], v[62:63], v[28:29]
	v_accvgpr_read_b32 v6, a62
	v_accvgpr_read_b32 v7, a63
	v_accvgpr_read_b32 v12, a56
	v_add_f64 v[50:51], v[50:51], v[52:53]
	v_add_f64 v[48:49], v[48:49], v[24:25]
	v_fmac_f64_e32 v[8:9], v[60:61], v[28:29]
	v_fma_f64 v[10:11], v[60:61], v[30:31], -v[0:1]
	v_accvgpr_read_b32 v5, a61
	s_waitcnt lgkmcnt(6)
	v_mul_f64 v[0:1], v[6:7], v[38:39]
	v_mul_f64 v[2:3], v[6:7], v[36:37]
	v_accvgpr_read_b32 v14, a58
	v_accvgpr_read_b32 v15, a59
	v_accvgpr_read_b32 v28, a52
	v_add_f64 v[50:51], v[50:51], v[26:27]
	v_add_f64 v[48:49], v[48:49], v[20:21]
	v_fmac_f64_e32 v[0:1], v[4:5], v[36:37]
	v_fma_f64 v[2:3], v[4:5], v[38:39], -v[2:3]
	v_accvgpr_read_b32 v13, a57
	s_waitcnt lgkmcnt(5)
	v_mul_f64 v[4:5], v[14:15], v[42:43]
	v_mul_f64 v[6:7], v[14:15], v[40:41]
	v_accvgpr_read_b32 v30, a54
	v_accvgpr_read_b32 v31, a55
	v_add_f64 v[50:51], v[50:51], v[16:17]
	v_add_f64 v[48:49], v[48:49], v[8:9]
	v_fmac_f64_e32 v[4:5], v[12:13], v[40:41]
	v_fma_f64 v[6:7], v[12:13], v[42:43], -v[6:7]
	v_accvgpr_read_b32 v29, a53
	s_waitcnt lgkmcnt(4)
	v_mul_f64 v[12:13], v[30:31], v[114:115]
	v_add_f64 v[50:51], v[50:51], v[10:11]
	v_add_f64 v[48:49], v[48:49], v[0:1]
	v_fmac_f64_e32 v[12:13], v[28:29], v[112:113]
	v_mul_f64 v[14:15], v[30:31], v[112:113]
	s_waitcnt lgkmcnt(3)
	v_mul_f64 v[18:19], v[78:79], v[122:123]
	s_waitcnt lgkmcnt(0)
	v_mul_f64 v[42:43], v[66:67], v[132:133]
	v_add_f64 v[50:51], v[50:51], v[2:3]
	v_add_f64 v[48:49], v[48:49], v[4:5]
	v_fma_f64 v[14:15], v[28:29], v[114:115], -v[14:15]
	v_fmac_f64_e32 v[18:19], v[76:77], v[120:121]
	v_mul_f64 v[22:23], v[78:79], v[120:121]
	v_mul_f64 v[28:29], v[74:75], v[126:127]
	;; [unrolled: 1-line block ×3, first 2 shown]
	v_fma_f64 v[42:43], v[64:65], v[134:135], -v[42:43]
	v_add_f64 v[50:51], v[50:51], v[6:7]
	v_add_f64 v[48:49], v[48:49], v[12:13]
	s_mov_b32 s26, 0xe00740e9
	s_mov_b32 s20, 0x1ea71119
	;; [unrolled: 1-line block ×6, first 2 shown]
	v_fma_f64 v[22:23], v[76:77], v[122:123], -v[22:23]
	v_fmac_f64_e32 v[28:29], v[72:73], v[124:125]
	v_mul_f64 v[30:31], v[74:75], v[124:125]
	v_mul_f64 v[36:37], v[70:71], v[130:131]
	v_fmac_f64_e32 v[40:41], v[64:65], v[132:133]
	v_add_f64 v[50:51], v[50:51], v[14:15]
	v_add_f64 v[48:49], v[48:49], v[18:19]
	;; [unrolled: 1-line block ×3, first 2 shown]
	s_mov_b32 s27, 0x3fec55a7
	s_mov_b32 s21, 0x3fe22d96
	;; [unrolled: 1-line block ×7, first 2 shown]
	v_fma_f64 v[30:31], v[72:73], v[126:127], -v[30:31]
	v_fmac_f64_e32 v[36:37], v[68:69], v[128:129]
	v_mul_f64 v[38:39], v[70:71], v[128:129]
	v_add_f64 v[50:51], v[50:51], v[22:23]
	v_add_f64 v[48:49], v[48:49], v[28:29]
	;; [unrolled: 1-line block ×3, first 2 shown]
	v_add_f64 v[32:33], v[32:33], -v[40:41]
	s_mov_b32 s24, 0x4267c47c
	v_mul_f64 v[58:59], v[56:57], s[26:27]
	s_mov_b32 s18, 0x42a4c3d2
	v_mul_f64 v[66:67], v[56:57], s[20:21]
	s_mov_b32 s0, 0x66966769
	v_mul_f64 v[74:75], v[56:57], s[6:7]
	s_mov_b32 s30, 0x2ef20147
	v_mul_f64 v[114:115], v[56:57], s[34:35]
	s_mov_b32 s38, 0x24c2f84
	v_mul_f64 v[126:127], v[56:57], s[40:41]
	s_mov_b32 s45, 0xbfcea1e5
	v_mul_f64 v[56:57], v[56:57], s[46:47]
	s_mov_b32 s49, 0x3fcea1e5
	s_mov_b32 s48, s44
	v_fma_f64 v[38:39], v[68:69], v[130:131], -v[38:39]
	v_add_f64 v[50:51], v[50:51], v[30:31]
	v_add_f64 v[48:49], v[48:49], v[36:37]
	v_add_f64 v[34:35], v[34:35], -v[42:43]
	s_mov_b32 s25, 0xbfddbe06
	s_mov_b32 s29, 0x3fddbe06
	;; [unrolled: 1-line block ×15, first 2 shown]
	v_fma_f64 v[132:133], s[48:49], v[32:33], v[56:57]
	v_fmac_f64_e32 v[56:57], s[44:45], v[32:33]
	v_add_f64 v[50:51], v[50:51], v[38:39]
	v_add_f64 v[48:49], v[48:49], v[40:41]
	v_mul_f64 v[40:41], v[34:35], s[24:25]
	v_fma_f64 v[60:61], s[28:29], v[32:33], v[58:59]
	v_fmac_f64_e32 v[58:59], s[24:25], v[32:33]
	v_mul_f64 v[62:63], v[34:35], s[18:19]
	v_fma_f64 v[68:69], s[22:23], v[32:33], v[66:67]
	v_fmac_f64_e32 v[66:67], s[18:19], v[32:33]
	;; [unrolled: 3-line block ×5, first 2 shown]
	v_mul_f64 v[34:35], v[34:35], s[44:45]
	v_add_f64 v[32:33], v[118:119], v[56:57]
	v_add_f64 v[56:57], v[52:53], v[38:39]
	v_add_f64 v[38:39], v[52:53], -v[38:39]
	v_add_f64 v[50:51], v[50:51], v[42:43]
	v_fma_f64 v[42:43], s[26:27], v[54:55], v[40:41]
	v_fma_f64 v[40:41], v[54:55], s[26:27], -v[40:41]
	v_fma_f64 v[64:65], s[20:21], v[54:55], v[62:63]
	v_fma_f64 v[62:63], v[54:55], s[20:21], -v[62:63]
	;; [unrolled: 2-line block ×6, first 2 shown]
	v_add_f64 v[54:55], v[44:45], v[36:37]
	v_add_f64 v[36:37], v[44:45], -v[36:37]
	v_mul_f64 v[44:45], v[38:39], s[18:19]
	v_add_f64 v[42:43], v[116:117], v[42:43]
	v_fma_f64 v[52:53], s[20:21], v[54:55], v[44:45]
	v_add_f64 v[42:43], v[52:53], v[42:43]
	v_mul_f64 v[52:53], v[56:57], s[20:21]
	v_add_f64 v[40:41], v[116:117], v[40:41]
	v_add_f64 v[58:59], v[118:119], v[58:59]
	;; [unrolled: 1-line block ×12, first 2 shown]
	v_fma_f64 v[116:117], s[22:23], v[36:37], v[52:53]
	v_fma_f64 v[44:45], v[54:55], s[20:21], -v[44:45]
	v_fmac_f64_e32 v[52:53], s[18:19], v[36:37]
	v_add_f64 v[40:41], v[44:45], v[40:41]
	v_add_f64 v[44:45], v[52:53], v[58:59]
	v_mul_f64 v[52:53], v[38:39], s[30:31]
	v_fma_f64 v[58:59], s[34:35], v[54:55], v[52:53]
	v_add_f64 v[60:61], v[118:119], v[60:61]
	v_add_f64 v[58:59], v[58:59], v[64:65]
	v_mul_f64 v[64:65], v[56:57], s[34:35]
	v_add_f64 v[66:67], v[118:119], v[66:67]
	v_add_f64 v[60:61], v[116:117], v[60:61]
	v_fma_f64 v[116:117], s[36:37], v[36:37], v[64:65]
	v_fma_f64 v[52:53], v[54:55], s[34:35], -v[52:53]
	v_fmac_f64_e32 v[64:65], s[30:31], v[36:37]
	v_add_f64 v[52:53], v[52:53], v[62:63]
	v_add_f64 v[62:63], v[64:65], v[66:67]
	v_mul_f64 v[64:65], v[38:39], s[44:45]
	v_fma_f64 v[66:67], s[46:47], v[54:55], v[64:65]
	v_add_f64 v[68:69], v[118:119], v[68:69]
	v_add_f64 v[66:67], v[66:67], v[72:73]
	v_mul_f64 v[72:73], v[56:57], s[46:47]
	v_add_f64 v[74:75], v[118:119], v[74:75]
	v_add_f64 v[68:69], v[116:117], v[68:69]
	;; [unrolled: 12-line block ×3, first 2 shown]
	v_fma_f64 v[116:117], s[38:39], v[36:37], v[112:113]
	v_fma_f64 v[72:73], v[54:55], s[40:41], -v[72:73]
	v_fmac_f64_e32 v[112:113], s[42:43], v[36:37]
	v_add_f64 v[72:73], v[72:73], v[78:79]
	v_add_f64 v[78:79], v[112:113], v[114:115]
	v_mul_f64 v[112:113], v[38:39], s[16:17]
	v_fma_f64 v[114:115], s[6:7], v[54:55], v[112:113]
	v_fma_f64 v[112:113], v[54:55], s[6:7], -v[112:113]
	v_mul_f64 v[38:39], v[38:39], s[28:29]
	v_add_f64 v[112:113], v[112:113], v[122:123]
	v_fma_f64 v[122:123], s[26:27], v[54:55], v[38:39]
	v_fma_f64 v[38:39], v[54:55], s[26:27], -v[38:39]
	v_add_f64 v[120:121], v[118:119], v[120:121]
	v_add_f64 v[128:129], v[118:119], v[128:129]
	;; [unrolled: 1-line block ×4, first 2 shown]
	v_mul_f64 v[118:119], v[56:57], s[6:7]
	v_mul_f64 v[56:57], v[56:57], s[26:27]
	v_add_f64 v[34:35], v[38:39], v[34:35]
	v_add_f64 v[38:39], v[26:27], v[30:31]
	v_add_f64 v[26:27], v[26:27], -v[30:31]
	v_add_f64 v[116:117], v[116:117], v[120:121]
	v_add_f64 v[114:115], v[114:115], v[124:125]
	v_fma_f64 v[120:121], s[0:1], v[36:37], v[118:119]
	v_fmac_f64_e32 v[118:119], s[16:17], v[36:37]
	v_fma_f64 v[124:125], s[24:25], v[36:37], v[56:57]
	v_fmac_f64_e32 v[56:57], s[28:29], v[36:37]
	v_add_f64 v[36:37], v[24:25], v[28:29]
	v_add_f64 v[24:25], v[24:25], -v[28:29]
	v_mul_f64 v[28:29], v[26:27], s[0:1]
	v_fma_f64 v[30:31], s[6:7], v[36:37], v[28:29]
	v_add_f64 v[30:31], v[30:31], v[42:43]
	v_mul_f64 v[42:43], v[38:39], s[6:7]
	v_fma_f64 v[54:55], s[16:17], v[24:25], v[42:43]
	v_fma_f64 v[28:29], v[36:37], s[6:7], -v[28:29]
	v_fmac_f64_e32 v[42:43], s[0:1], v[24:25]
	v_add_f64 v[28:29], v[28:29], v[40:41]
	v_add_f64 v[40:41], v[42:43], v[44:45]
	v_mul_f64 v[42:43], v[26:27], s[44:45]
	v_add_f64 v[32:33], v[56:57], v[32:33]
	v_fma_f64 v[44:45], s[46:47], v[36:37], v[42:43]
	v_mul_f64 v[56:57], v[38:39], s[46:47]
	v_add_f64 v[44:45], v[44:45], v[58:59]
	v_fma_f64 v[58:59], s[48:49], v[24:25], v[56:57]
	v_fma_f64 v[42:43], v[36:37], s[46:47], -v[42:43]
	v_fmac_f64_e32 v[56:57], s[44:45], v[24:25]
	v_add_f64 v[42:43], v[42:43], v[52:53]
	v_add_f64 v[52:53], v[56:57], v[62:63]
	v_mul_f64 v[56:57], v[26:27], s[36:37]
	v_add_f64 v[54:55], v[54:55], v[60:61]
	v_fma_f64 v[60:61], s[34:35], v[36:37], v[56:57]
	v_fma_f64 v[56:57], v[36:37], s[34:35], -v[56:57]
	v_mul_f64 v[62:63], v[38:39], s[34:35]
	v_add_f64 v[56:57], v[56:57], v[64:65]
	v_mul_f64 v[64:65], v[26:27], s[28:29]
	v_add_f64 v[58:59], v[58:59], v[68:69]
	v_add_f64 v[60:61], v[60:61], v[66:67]
	v_fma_f64 v[66:67], s[30:31], v[24:25], v[62:63]
	v_fmac_f64_e32 v[62:63], s[36:37], v[24:25]
	v_fma_f64 v[68:69], s[26:27], v[36:37], v[64:65]
	v_fma_f64 v[64:65], v[36:37], s[26:27], -v[64:65]
	v_add_f64 v[62:63], v[62:63], v[70:71]
	v_mul_f64 v[70:71], v[38:39], s[26:27]
	v_add_f64 v[64:65], v[64:65], v[72:73]
	v_mul_f64 v[72:73], v[26:27], s[18:19]
	v_add_f64 v[66:67], v[66:67], v[76:77]
	v_add_f64 v[68:69], v[68:69], v[74:75]
	v_fma_f64 v[74:75], s[24:25], v[24:25], v[70:71]
	v_fmac_f64_e32 v[70:71], s[28:29], v[24:25]
	v_fma_f64 v[76:77], s[20:21], v[36:37], v[72:73]
	v_fma_f64 v[72:73], v[36:37], s[20:21], -v[72:73]
	v_mul_f64 v[26:27], v[26:27], s[38:39]
	v_add_f64 v[70:71], v[70:71], v[78:79]
	v_mul_f64 v[78:79], v[38:39], s[20:21]
	v_add_f64 v[72:73], v[72:73], v[112:113]
	v_fma_f64 v[112:113], s[40:41], v[36:37], v[26:27]
	v_mul_f64 v[38:39], v[38:39], s[40:41]
	v_fma_f64 v[26:27], v[36:37], s[40:41], -v[26:27]
	v_add_f64 v[74:75], v[74:75], v[116:117]
	v_fma_f64 v[116:117], s[42:43], v[24:25], v[38:39]
	v_add_f64 v[26:27], v[26:27], v[34:35]
	v_fmac_f64_e32 v[38:39], s[38:39], v[24:25]
	v_add_f64 v[34:35], v[16:17], v[22:23]
	v_add_f64 v[16:17], v[16:17], -v[22:23]
	v_add_f64 v[76:77], v[76:77], v[114:115]
	v_fma_f64 v[114:115], s[22:23], v[24:25], v[78:79]
	v_fmac_f64_e32 v[78:79], s[18:19], v[24:25]
	v_add_f64 v[24:25], v[38:39], v[32:33]
	v_add_f64 v[32:33], v[20:21], v[18:19]
	v_add_f64 v[18:19], v[20:21], -v[18:19]
	v_mul_f64 v[20:21], v[16:17], s[30:31]
	v_fma_f64 v[22:23], s[34:35], v[32:33], v[20:21]
	v_add_f64 v[22:23], v[22:23], v[30:31]
	v_mul_f64 v[30:31], v[34:35], s[34:35]
	v_fma_f64 v[36:37], s[36:37], v[18:19], v[30:31]
	v_fma_f64 v[20:21], v[32:33], s[34:35], -v[20:21]
	v_fmac_f64_e32 v[30:31], s[30:31], v[18:19]
	v_add_f64 v[20:21], v[20:21], v[28:29]
	v_add_f64 v[28:29], v[30:31], v[40:41]
	v_mul_f64 v[30:31], v[16:17], s[42:43]
	v_fma_f64 v[38:39], s[40:41], v[32:33], v[30:31]
	v_mul_f64 v[40:41], v[34:35], s[40:41]
	v_fma_f64 v[30:31], v[32:33], s[40:41], -v[30:31]
	v_add_f64 v[38:39], v[38:39], v[44:45]
	v_fma_f64 v[44:45], s[38:39], v[18:19], v[40:41]
	v_add_f64 v[30:31], v[30:31], v[42:43]
	v_fmac_f64_e32 v[40:41], s[42:43], v[18:19]
	v_mul_f64 v[42:43], v[16:17], s[28:29]
	v_add_f64 v[40:41], v[40:41], v[52:53]
	v_fma_f64 v[52:53], s[26:27], v[32:33], v[42:43]
	v_fma_f64 v[42:43], v[32:33], s[26:27], -v[42:43]
	v_add_f64 v[36:37], v[36:37], v[54:55]
	v_mul_f64 v[54:55], v[34:35], s[26:27]
	v_add_f64 v[42:43], v[42:43], v[56:57]
	v_mul_f64 v[56:57], v[16:17], s[0:1]
	v_add_f64 v[44:45], v[44:45], v[58:59]
	v_add_f64 v[52:53], v[52:53], v[60:61]
	v_fma_f64 v[58:59], s[24:25], v[18:19], v[54:55]
	v_fmac_f64_e32 v[54:55], s[28:29], v[18:19]
	v_fma_f64 v[60:61], s[6:7], v[32:33], v[56:57]
	v_fma_f64 v[56:57], v[32:33], s[6:7], -v[56:57]
	v_add_f64 v[54:55], v[54:55], v[62:63]
	v_mul_f64 v[62:63], v[34:35], s[6:7]
	v_add_f64 v[56:57], v[56:57], v[64:65]
	v_mul_f64 v[64:65], v[16:17], s[48:49]
	v_add_f64 v[58:59], v[58:59], v[66:67]
	v_add_f64 v[60:61], v[60:61], v[68:69]
	v_fma_f64 v[66:67], s[16:17], v[18:19], v[62:63]
	v_fmac_f64_e32 v[62:63], s[0:1], v[18:19]
	v_fma_f64 v[68:69], s[46:47], v[32:33], v[64:65]
	v_fma_f64 v[64:65], v[32:33], s[46:47], -v[64:65]
	v_mul_f64 v[16:17], v[16:17], s[22:23]
	v_add_f64 v[62:63], v[62:63], v[70:71]
	v_mul_f64 v[70:71], v[34:35], s[46:47]
	v_add_f64 v[64:65], v[64:65], v[72:73]
	v_fma_f64 v[72:73], s[20:21], v[32:33], v[16:17]
	v_mul_f64 v[34:35], v[34:35], s[20:21]
	v_fma_f64 v[16:17], v[32:33], s[20:21], -v[16:17]
	v_add_f64 v[68:69], v[68:69], v[76:77]
	v_fma_f64 v[76:77], s[18:19], v[18:19], v[34:35]
	v_add_f64 v[16:17], v[16:17], v[26:27]
	v_fmac_f64_e32 v[34:35], s[22:23], v[18:19]
	v_add_f64 v[26:27], v[10:11], v[14:15]
	v_add_f64 v[10:11], v[10:11], -v[14:15]
	v_add_f64 v[66:67], v[66:67], v[74:75]
	v_fma_f64 v[74:75], s[44:45], v[18:19], v[70:71]
	v_fmac_f64_e32 v[70:71], s[48:49], v[18:19]
	v_add_f64 v[18:19], v[34:35], v[24:25]
	v_add_f64 v[24:25], v[8:9], v[12:13]
	v_add_f64 v[8:9], v[8:9], -v[12:13]
	v_mul_f64 v[12:13], v[10:11], s[38:39]
	v_fma_f64 v[14:15], s[40:41], v[24:25], v[12:13]
	v_add_f64 v[14:15], v[14:15], v[22:23]
	v_mul_f64 v[22:23], v[26:27], s[40:41]
	v_fma_f64 v[12:13], v[24:25], s[40:41], -v[12:13]
	v_fma_f64 v[32:33], s[42:43], v[8:9], v[22:23]
	v_add_f64 v[12:13], v[12:13], v[20:21]
	v_fmac_f64_e32 v[22:23], s[38:39], v[8:9]
	v_mul_f64 v[20:21], v[10:11], s[16:17]
	v_add_f64 v[22:23], v[22:23], v[28:29]
	v_fma_f64 v[28:29], s[6:7], v[24:25], v[20:21]
	v_fma_f64 v[20:21], v[24:25], s[6:7], -v[20:21]
	v_add_f64 v[30:31], v[20:21], v[30:31]
	v_mul_f64 v[20:21], v[10:11], s[18:19]
	v_add_f64 v[28:29], v[28:29], v[38:39]
	v_mul_f64 v[34:35], v[26:27], s[6:7]
	v_fma_f64 v[38:39], s[20:21], v[24:25], v[20:21]
	v_fma_f64 v[20:21], v[24:25], s[20:21], -v[20:21]
	v_add_f64 v[32:33], v[32:33], v[36:37]
	v_fma_f64 v[36:37], s[0:1], v[8:9], v[34:35]
	v_fmac_f64_e32 v[34:35], s[16:17], v[8:9]
	v_add_f64 v[42:43], v[20:21], v[42:43]
	v_mul_f64 v[20:21], v[10:11], s[48:49]
	v_add_f64 v[34:35], v[34:35], v[40:41]
	v_add_f64 v[38:39], v[38:39], v[52:53]
	v_mul_f64 v[40:41], v[26:27], s[20:21]
	v_fma_f64 v[52:53], s[46:47], v[24:25], v[20:21]
	v_fma_f64 v[20:21], v[24:25], s[46:47], -v[20:21]
	v_add_f64 v[122:123], v[122:123], v[130:131]
	v_add_f64 v[36:37], v[36:37], v[44:45]
	v_fma_f64 v[44:45], s[22:23], v[8:9], v[40:41]
	v_fmac_f64_e32 v[40:41], s[18:19], v[8:9]
	v_add_f64 v[56:57], v[20:21], v[56:57]
	v_mul_f64 v[20:21], v[10:11], s[28:29]
	v_add_f64 v[112:113], v[112:113], v[122:123]
	v_add_f64 v[40:41], v[40:41], v[54:55]
	;; [unrolled: 1-line block ×3, first 2 shown]
	v_mul_f64 v[54:55], v[26:27], s[46:47]
	v_fma_f64 v[60:61], s[26:27], v[24:25], v[20:21]
	v_fma_f64 v[20:21], v[24:25], s[26:27], -v[20:21]
	v_mul_f64 v[10:11], v[10:11], s[30:31]
	v_add_f64 v[120:121], v[120:121], v[128:129]
	v_add_f64 v[118:119], v[118:119], v[126:127]
	v_add_f64 v[124:125], v[124:125], v[132:133]
	v_add_f64 v[72:73], v[72:73], v[112:113]
	v_add_f64 v[44:45], v[44:45], v[58:59]
	v_fma_f64 v[58:59], s[44:45], v[8:9], v[54:55]
	v_fmac_f64_e32 v[54:55], s[48:49], v[8:9]
	v_add_f64 v[64:65], v[20:21], v[64:65]
	v_fma_f64 v[20:21], s[34:35], v[24:25], v[10:11]
	v_add_f64 v[114:115], v[114:115], v[120:121]
	v_add_f64 v[78:79], v[78:79], v[118:119]
	;; [unrolled: 1-line block ×5, first 2 shown]
	v_mul_f64 v[62:63], v[26:27], s[26:27]
	v_add_f64 v[68:69], v[20:21], v[72:73]
	v_mul_f64 v[20:21], v[26:27], s[34:35]
	v_add_f64 v[74:75], v[74:75], v[114:115]
	v_add_f64 v[70:71], v[70:71], v[78:79]
	;; [unrolled: 1-line block ×4, first 2 shown]
	v_fma_f64 v[66:67], s[24:25], v[8:9], v[62:63]
	v_fmac_f64_e32 v[62:63], s[28:29], v[8:9]
	v_fma_f64 v[26:27], s[36:37], v[8:9], v[20:21]
	v_add_f64 v[78:79], v[2:3], v[6:7]
	v_add_f64 v[114:115], v[2:3], -v[6:7]
	v_add_f64 v[62:63], v[62:63], v[70:71]
	v_add_f64 v[70:71], v[26:27], v[76:77]
	v_fma_f64 v[10:11], v[24:25], s[34:35], -v[10:11]
	v_add_f64 v[76:77], v[0:1], v[4:5]
	v_add_f64 v[112:113], v[0:1], -v[4:5]
	v_mul_f64 v[4:5], v[114:115], s[44:45]
	v_mul_f64 v[6:7], v[78:79], s[46:47]
	v_add_f64 v[72:73], v[10:11], v[16:17]
	v_fma_f64 v[0:1], s[46:47], v[76:77], v[4:5]
	v_fma_f64 v[2:3], s[48:49], v[112:113], v[6:7]
	v_fmac_f64_e32 v[6:7], s[44:45], v[112:113]
	v_mul_f64 v[10:11], v[78:79], s[26:27]
	v_fmac_f64_e32 v[20:21], s[30:31], v[8:9]
	v_add_f64 v[0:1], v[0:1], v[14:15]
	v_add_f64 v[22:23], v[6:7], v[22:23]
	v_fma_f64 v[6:7], s[24:25], v[112:113], v[10:11]
	v_fmac_f64_e32 v[10:11], s[28:29], v[112:113]
	v_mul_f64 v[14:15], v[78:79], s[40:41]
	v_add_f64 v[66:67], v[66:67], v[74:75]
	v_add_f64 v[74:75], v[20:21], v[18:19]
	v_fma_f64 v[4:5], v[76:77], s[46:47], -v[4:5]
	v_mul_f64 v[8:9], v[114:115], s[28:29]
	v_add_f64 v[34:35], v[10:11], v[34:35]
	v_fma_f64 v[10:11], s[42:43], v[112:113], v[14:15]
	v_fmac_f64_e32 v[14:15], s[38:39], v[112:113]
	v_mul_f64 v[18:19], v[78:79], s[20:21]
	v_add_f64 v[20:21], v[4:5], v[12:13]
	v_fma_f64 v[4:5], s[26:27], v[76:77], v[8:9]
	v_fma_f64 v[8:9], v[76:77], s[26:27], -v[8:9]
	v_mul_f64 v[12:13], v[114:115], s[38:39]
	v_add_f64 v[26:27], v[14:15], v[40:41]
	v_fma_f64 v[14:15], s[18:19], v[112:113], v[18:19]
	v_fmac_f64_e32 v[18:19], s[22:23], v[112:113]
	v_add_f64 v[2:3], v[2:3], v[32:33]
	v_add_f64 v[32:33], v[8:9], v[30:31]
	v_fma_f64 v[8:9], s[40:41], v[76:77], v[12:13]
	v_add_f64 v[10:11], v[10:11], v[44:45]
	v_fma_f64 v[12:13], v[76:77], s[40:41], -v[12:13]
	v_mul_f64 v[16:17], v[114:115], s[22:23]
	v_add_f64 v[18:19], v[18:19], v[54:55]
	v_mul_f64 v[44:45], v[114:115], s[16:17]
	v_mul_f64 v[54:55], v[78:79], s[6:7]
	v_add_f64 v[6:7], v[6:7], v[36:37]
	v_add_f64 v[8:9], v[8:9], v[38:39]
	;; [unrolled: 1-line block ×3, first 2 shown]
	v_fma_f64 v[12:13], s[20:21], v[76:77], v[16:17]
	v_mul_f64 v[36:37], v[114:115], s[30:31]
	v_mul_f64 v[38:39], v[78:79], s[34:35]
	v_fma_f64 v[40:41], s[6:7], v[76:77], v[44:45]
	v_fma_f64 v[42:43], s[0:1], v[112:113], v[54:55]
	v_fma_f64 v[44:45], v[76:77], s[6:7], -v[44:45]
	v_fmac_f64_e32 v[54:55], s[16:17], v[112:113]
	v_add_f64 v[4:5], v[4:5], v[28:29]
	v_add_f64 v[12:13], v[12:13], v[52:53]
	v_fma_f64 v[16:17], v[76:77], s[20:21], -v[16:17]
	v_fma_f64 v[28:29], s[34:35], v[76:77], v[36:37]
	v_fma_f64 v[30:31], s[36:37], v[112:113], v[38:39]
	v_fma_f64 v[36:37], v[76:77], s[34:35], -v[36:37]
	v_fmac_f64_e32 v[38:39], s[30:31], v[112:113]
	v_add_f64 v[52:53], v[44:45], v[72:73]
	v_add_f64 v[54:55], v[54:55], v[74:75]
	;; [unrolled: 1-line block ×10, first 2 shown]
	s_barrier
	ds_write_b128 v46, v[48:51]
	ds_write_b128 v46, v[0:3] offset:272
	ds_write_b128 v46, v[4:7] offset:544
	;; [unrolled: 1-line block ×12, first 2 shown]
	s_waitcnt lgkmcnt(0)
	s_barrier
	ds_read_b128 v[48:51], v236
	ds_read_b128 v[116:119], v236 offset:3536
	ds_read_b128 v[76:79], v236 offset:7072
	;; [unrolled: 1-line block ×8, first 2 shown]
	s_and_saveexec_b64 s[0:1], s[2:3]
	s_cbranch_execz .LBB0_19
; %bb.18:
	ds_read_b128 v[16:19], v236 offset:2448
	ds_read_b128 v[24:27], v236 offset:5984
	;; [unrolled: 1-line block ×9, first 2 shown]
.LBB0_19:
	s_or_b64 exec, exec, s[0:1]
	s_waitcnt lgkmcnt(7)
	v_mul_f64 v[0:1], v[94:95], v[118:119]
	v_mul_f64 v[2:3], v[94:95], v[116:117]
	s_waitcnt lgkmcnt(4)
	v_mul_f64 v[12:13], v[82:83], v[68:69]
	s_waitcnt lgkmcnt(0)
	v_mul_f64 v[36:37], v[98:99], v[54:55]
	v_mul_f64 v[38:39], v[98:99], v[52:53]
	v_fmac_f64_e32 v[0:1], v[92:93], v[116:117]
	v_fma_f64 v[2:3], v[92:93], v[118:119], -v[2:3]
	v_mul_f64 v[4:5], v[90:91], v[78:79]
	v_mul_f64 v[6:7], v[90:91], v[76:77]
	v_fma_f64 v[42:43], v[80:81], v[70:71], -v[12:13]
	v_mul_f64 v[12:13], v[110:111], v[64:65]
	v_mul_f64 v[28:29], v[102:103], v[58:59]
	;; [unrolled: 1-line block ×3, first 2 shown]
	v_fmac_f64_e32 v[36:37], v[96:97], v[52:53]
	v_fma_f64 v[38:39], v[96:97], v[54:55], -v[38:39]
	s_mov_b32 s0, 0x523c161c
	s_mov_b32 s20, 0xa2cf5039
	v_fmac_f64_e32 v[4:5], v[88:89], v[76:77]
	v_fma_f64 v[6:7], v[88:89], v[78:79], -v[6:7]
	v_mul_f64 v[8:9], v[86:87], v[74:75]
	v_mul_f64 v[10:11], v[86:87], v[72:73]
	;; [unrolled: 1-line block ×3, first 2 shown]
	v_fma_f64 v[46:47], v[108:109], v[66:67], -v[12:13]
	v_mul_f64 v[12:13], v[106:107], v[62:63]
	v_mul_f64 v[14:15], v[106:107], v[60:61]
	v_fmac_f64_e32 v[28:29], v[100:101], v[56:57]
	v_fma_f64 v[30:31], v[100:101], v[58:59], -v[30:31]
	v_add_f64 v[52:53], v[0:1], v[36:37]
	v_add_f64 v[66:67], v[2:3], -v[38:39]
	s_mov_b32 s1, 0x3fe491b7
	s_mov_b32 s6, 0x8c811c17
	;; [unrolled: 1-line block ×4, first 2 shown]
	v_fmac_f64_e32 v[8:9], v[84:85], v[72:73]
	v_fma_f64 v[10:11], v[84:85], v[74:75], -v[10:11]
	v_mul_f64 v[40:41], v[82:83], v[70:71]
	v_fmac_f64_e32 v[44:45], v[108:109], v[64:65]
	v_fmac_f64_e32 v[12:13], v[104:105], v[60:61]
	v_fma_f64 v[14:15], v[104:105], v[62:63], -v[14:15]
	v_add_f64 v[54:55], v[2:3], v[38:39]
	v_add_f64 v[56:57], v[4:5], v[28:29]
	v_add_f64 v[58:59], v[6:7], v[30:31]
	v_add_f64 v[64:65], v[0:1], -v[36:37]
	v_add_f64 v[70:71], v[6:7], -v[30:31]
	v_mul_f64 v[6:7], v[66:67], s[0:1]
	s_mov_b32 s7, 0x3fef838b
	s_mov_b32 s16, 0xe8584cab
	v_fma_f64 v[0:1], s[20:21], v[52:53], v[48:49]
	s_mov_b32 s23, 0x3fc63a1a
	v_fmac_f64_e32 v[40:41], v[80:81], v[68:69]
	v_add_f64 v[60:61], v[8:9], v[12:13]
	v_add_f64 v[68:69], v[4:5], -v[28:29]
	v_add_f64 v[72:73], v[8:9], -v[12:13]
	;; [unrolled: 1-line block ×3, first 2 shown]
	v_mul_f64 v[8:9], v[64:65], s[0:1]
	v_fmac_f64_e32 v[6:7], s[6:7], v[70:71]
	s_mov_b32 s17, 0x3febb67a
	s_mov_b32 s18, 0x748a0bf8
	v_fma_f64 v[2:3], s[20:21], v[54:55], v[50:51]
	v_fmac_f64_e32 v[0:1], s[22:23], v[56:57]
	s_mov_b32 s24, 0x42522d1b
	v_add_f64 v[62:63], v[10:11], v[14:15]
	v_fmac_f64_e32 v[8:9], s[6:7], v[68:69]
	v_fmac_f64_e32 v[6:7], s[16:17], v[74:75]
	v_add_f64 v[78:79], v[42:43], -v[46:47]
	s_mov_b32 s19, 0x3fd5e3a8
	v_fmac_f64_e32 v[2:3], s[22:23], v[58:59]
	v_fmac_f64_e32 v[0:1], -0.5, v[60:61]
	v_add_f64 v[80:81], v[40:41], v[44:45]
	s_mov_b32 s25, 0xbfee11f6
	v_fmac_f64_e32 v[8:9], s[16:17], v[72:73]
	v_add_f64 v[76:77], v[40:41], -v[44:45]
	v_fmac_f64_e32 v[6:7], s[18:19], v[78:79]
	v_fmac_f64_e32 v[2:3], -0.5, v[62:63]
	v_add_f64 v[82:83], v[42:43], v[46:47]
	v_fmac_f64_e32 v[0:1], s[24:25], v[80:81]
	v_fmac_f64_e32 v[8:9], s[18:19], v[76:77]
	;; [unrolled: 1-line block ×3, first 2 shown]
	v_add_f64 v[0:1], v[0:1], -v[6:7]
	v_add_f64 v[2:3], v[8:9], v[2:3]
	v_mov_b64_e32 v[4:5], v[0:1]
	v_fmac_f64_e32 v[4:5], 2.0, v[6:7]
	v_mov_b64_e32 v[6:7], v[2:3]
	s_mov_b32 s27, 0xbfe491b7
	s_mov_b32 s26, s0
	v_fmac_f64_e32 v[6:7], -2.0, v[8:9]
	v_mul_f64 v[14:15], v[78:79], s[26:27]
	v_fma_f64 v[8:9], s[20:21], v[80:81], v[48:49]
	v_mul_f64 v[28:29], v[76:77], s[26:27]
	v_fmac_f64_e32 v[14:15], s[6:7], v[66:67]
	s_mov_b32 s29, 0xbfebb67a
	s_mov_b32 s28, s16
	v_fma_f64 v[10:11], s[20:21], v[82:83], v[50:51]
	v_fmac_f64_e32 v[8:9], s[22:23], v[52:53]
	v_fmac_f64_e32 v[28:29], s[6:7], v[64:65]
	v_fmac_f64_e32 v[14:15], s[28:29], v[74:75]
	v_fmac_f64_e32 v[10:11], s[22:23], v[54:55]
	v_fmac_f64_e32 v[8:9], -0.5, v[60:61]
	v_fmac_f64_e32 v[28:29], s[28:29], v[72:73]
	v_fmac_f64_e32 v[14:15], s[18:19], v[70:71]
	v_fmac_f64_e32 v[10:11], -0.5, v[62:63]
	v_fmac_f64_e32 v[8:9], s[24:25], v[56:57]
	v_fmac_f64_e32 v[28:29], s[18:19], v[68:69]
	;; [unrolled: 1-line block ×3, first 2 shown]
	v_add_f64 v[8:9], v[8:9], -v[14:15]
	v_add_f64 v[10:11], v[28:29], v[10:11]
	v_mov_b64_e32 v[12:13], v[8:9]
	v_fmac_f64_e32 v[12:13], 2.0, v[14:15]
	v_mov_b64_e32 v[14:15], v[10:11]
	v_fmac_f64_e32 v[14:15], -2.0, v[28:29]
	v_add_f64 v[28:29], v[76:77], v[64:65]
	v_add_f64 v[30:31], v[78:79], v[66:67]
	v_mul_f64 v[76:77], v[76:77], s[6:7]
	v_mul_f64 v[78:79], v[78:79], s[6:7]
	v_add_f64 v[36:37], v[28:29], -v[68:69]
	v_add_f64 v[38:39], v[30:31], -v[70:71]
	v_fma_f64 v[68:69], v[68:69], s[26:27], -v[76:77]
	v_fma_f64 v[70:71], v[70:71], s[26:27], -v[78:79]
	v_add_f64 v[88:89], v[56:57], v[52:53]
	v_add_f64 v[90:91], v[58:59], v[54:55]
	v_fmac_f64_e32 v[68:69], s[16:17], v[72:73]
	v_fmac_f64_e32 v[70:71], s[16:17], v[74:75]
	;; [unrolled: 1-line block ×4, first 2 shown]
	v_add_f64 v[64:65], v[60:61], v[88:89]
	v_add_f64 v[66:67], v[62:63], v[90:91]
	v_add_f64 v[40:41], v[40:41], v[64:65]
	v_add_f64 v[42:43], v[42:43], v[66:67]
	v_add_f64 v[40:41], v[44:45], v[40:41]
	v_add_f64 v[42:43], v[46:47], v[42:43]
	v_add_f64 v[28:29], v[48:49], v[60:61]
	v_add_f64 v[30:31], v[50:51], v[62:63]
	v_add_f64 v[40:41], v[48:49], v[40:41]
	v_add_f64 v[42:43], v[50:51], v[42:43]
	v_fmac_f64_e32 v[48:49], s[20:21], v[56:57]
	v_fmac_f64_e32 v[50:51], s[20:21], v[58:59]
	;; [unrolled: 1-line block ×4, first 2 shown]
	v_add_f64 v[92:93], v[80:81], v[88:89]
	v_add_f64 v[94:95], v[82:83], v[90:91]
	v_fmac_f64_e32 v[48:49], -0.5, v[60:61]
	v_fmac_f64_e32 v[50:51], -0.5, v[62:63]
	;; [unrolled: 1-line block ×4, first 2 shown]
	v_fmac_f64_e32 v[48:49], s[24:25], v[52:53]
	v_fmac_f64_e32 v[50:51], s[24:25], v[54:55]
	;; [unrolled: 1-line block ×4, first 2 shown]
	v_add_f64 v[44:45], v[48:49], -v[70:71]
	v_add_f64 v[46:47], v[68:69], v[50:51]
	v_mul_f64 v[84:85], v[36:37], s[16:17]
	v_mul_f64 v[86:87], v[38:39], s[16:17]
	v_mov_b64_e32 v[36:37], v[28:29]
	v_mov_b64_e32 v[38:39], v[30:31]
	;; [unrolled: 1-line block ×4, first 2 shown]
	v_fmac_f64_e32 v[36:37], 2.0, v[86:87]
	v_fmac_f64_e32 v[38:39], -2.0, v[84:85]
	v_fmac_f64_e32 v[48:49], 2.0, v[70:71]
	v_fmac_f64_e32 v[50:51], -2.0, v[68:69]
	ds_write_b128 v236, v[40:43]
	ds_write_b128 v236, v[0:3] offset:3536
	ds_write_b128 v236, v[8:11] offset:7072
	;; [unrolled: 1-line block ×8, first 2 shown]
	s_and_saveexec_b64 s[30:31], s[2:3]
	s_cbranch_execz .LBB0_21
; %bb.20:
	v_accvgpr_read_b32 v53, a15
	v_accvgpr_read_b32 v77, a47
	;; [unrolled: 1-line block ×11, first 2 shown]
	v_mul_f64 v[28:29], v[52:53], v[198:199]
	v_accvgpr_read_b32 v75, a45
	v_accvgpr_read_b32 v74, a44
	v_mul_f64 v[30:31], v[76:77], v[190:191]
	v_accvgpr_read_b32 v55, a17
	v_accvgpr_read_b32 v54, a16
	v_mul_f64 v[12:13], v[56:57], v[34:35]
	v_accvgpr_read_b32 v47, a49
	v_mul_f64 v[14:15], v[48:49], v[194:195]
	v_fmac_f64_e32 v[28:29], v[50:51], v[196:197]
	v_fmac_f64_e32 v[30:31], v[74:75], v[188:189]
	;; [unrolled: 1-line block ×4, first 2 shown]
	v_add_f64 v[42:43], v[28:29], -v[30:31]
	v_accvgpr_read_b32 v73, a43
	v_add_f64 v[40:41], v[12:13], -v[14:15]
	v_mul_f64 v[2:3], v[42:43], s[6:7]
	v_mul_f64 v[6:7], v[76:77], v[188:189]
	v_accvgpr_read_b32 v65, a11
	v_accvgpr_read_b32 v72, a42
	v_fma_f64 v[44:45], v[40:41], s[26:27], -v[2:3]
	v_mul_f64 v[2:3], v[48:49], v[192:193]
	v_fma_f64 v[48:49], v[74:75], v[190:191], -v[6:7]
	v_mul_f64 v[6:7], v[52:53], v[196:197]
	v_accvgpr_read_b32 v69, a35
	v_accvgpr_read_b32 v81, a67
	;; [unrolled: 1-line block ×5, first 2 shown]
	v_fma_f64 v[46:47], v[46:47], v[194:195], -v[2:3]
	v_mul_f64 v[2:3], v[56:57], v[32:33]
	v_fma_f64 v[50:51], v[50:51], v[198:199], -v[6:7]
	v_mul_f64 v[6:7], v[72:73], v[184:185]
	v_accvgpr_read_b32 v61, a7
	v_accvgpr_read_b32 v68, a34
	;; [unrolled: 1-line block ×6, first 2 shown]
	v_mul_f64 v[8:9], v[64:65], v[22:23]
	v_fma_f64 v[32:33], v[54:55], v[34:35], -v[2:3]
	v_fma_f64 v[54:55], v[70:71], v[186:187], -v[6:7]
	v_mul_f64 v[6:7], v[64:65], v[20:21]
	v_accvgpr_read_b32 v60, a6
	v_accvgpr_read_b32 v67, a33
	;; [unrolled: 1-line block ×4, first 2 shown]
	v_fmac_f64_e32 v[8:9], v[62:63], v[20:21]
	v_mul_f64 v[10:11], v[72:73], v[186:187]
	v_add_f64 v[34:35], v[32:33], v[46:47]
	v_fma_f64 v[20:21], v[62:63], v[22:23], -v[6:7]
	v_mul_f64 v[6:7], v[68:69], v[78:79]
	v_accvgpr_read_b32 v59, a5
	v_accvgpr_read_b32 v58, a4
	v_mul_f64 v[0:1], v[60:61], v[26:27]
	v_mul_f64 v[4:5], v[68:69], v[80:81]
	v_fmac_f64_e32 v[10:11], v[70:71], v[184:185]
	v_fma_f64 v[2:3], s[20:21], v[34:35], v[18:19]
	v_add_f64 v[52:53], v[50:51], v[48:49]
	v_fma_f64 v[22:23], v[66:67], v[80:81], -v[6:7]
	v_mul_f64 v[6:7], v[60:61], v[24:25]
	v_fmac_f64_e32 v[0:1], v[58:59], v[24:25]
	v_fmac_f64_e32 v[4:5], v[66:67], v[78:79]
	v_add_f64 v[38:39], v[8:9], -v[10:11]
	v_fmac_f64_e32 v[2:3], s[22:23], v[52:53]
	v_add_f64 v[56:57], v[20:21], v[54:55]
	v_fma_f64 v[24:25], v[58:59], v[26:27], -v[6:7]
	v_add_f64 v[36:37], v[0:1], -v[4:5]
	v_fmac_f64_e32 v[44:45], s[16:17], v[38:39]
	v_fmac_f64_e32 v[2:3], -0.5, v[56:57]
	v_add_f64 v[58:59], v[24:25], v[22:23]
	v_fmac_f64_e32 v[44:45], s[18:19], v[36:37]
	v_fmac_f64_e32 v[2:3], s[24:25], v[58:59]
	v_add_f64 v[32:33], v[32:33], -v[46:47]
	v_add_f64 v[46:47], v[50:51], -v[48:49]
	v_add_f64 v[60:61], v[12:13], v[14:15]
	v_add_f64 v[2:3], v[44:45], v[2:3]
	v_add_f64 v[54:55], v[20:21], -v[54:55]
	v_mul_f64 v[20:21], v[46:47], s[6:7]
	v_fma_f64 v[12:13], s[20:21], v[60:61], v[16:17]
	v_add_f64 v[62:63], v[28:29], v[30:31]
	v_mov_b64_e32 v[6:7], v[2:3]
	v_fma_f64 v[20:21], v[32:33], s[26:27], -v[20:21]
	v_fmac_f64_e32 v[12:13], s[22:23], v[62:63]
	v_add_f64 v[64:65], v[8:9], v[10:11]
	v_fmac_f64_e32 v[6:7], -2.0, v[44:45]
	v_add_f64 v[44:45], v[24:25], -v[22:23]
	v_fmac_f64_e32 v[20:21], s[16:17], v[54:55]
	v_fmac_f64_e32 v[12:13], -0.5, v[64:65]
	v_add_f64 v[66:67], v[0:1], v[4:5]
	v_fmac_f64_e32 v[20:21], s[18:19], v[44:45]
	v_fmac_f64_e32 v[12:13], s[24:25], v[66:67]
	v_add_f64 v[0:1], v[12:13], -v[20:21]
	v_add_f64 v[12:13], v[34:35], v[58:59]
	v_add_f64 v[8:9], v[56:57], v[12:13]
	v_mov_b64_e32 v[4:5], v[0:1]
	v_add_f64 v[8:9], v[50:51], v[8:9]
	v_add_f64 v[14:15], v[42:43], v[36:37]
	v_fmac_f64_e32 v[4:5], 2.0, v[20:21]
	v_add_f64 v[8:9], v[48:49], v[8:9]
	v_add_f64 v[20:21], v[60:61], v[66:67]
	v_add_f64 v[22:23], v[14:15], -v[40:41]
	v_add_f64 v[14:15], v[18:19], v[56:57]
	v_add_f64 v[12:13], v[52:53], v[12:13]
	;; [unrolled: 1-line block ×4, first 2 shown]
	v_fmac_f64_e32 v[14:15], -0.5, v[12:13]
	v_add_f64 v[12:13], v[16:17], v[64:65]
	v_add_f64 v[20:21], v[62:63], v[20:21]
	v_fmac_f64_e32 v[12:13], -0.5, v[20:21]
	v_add_f64 v[20:21], v[46:47], v[44:45]
	v_fmac_f64_e32 v[14:15], s[16:17], v[22:23]
	v_add_f64 v[20:21], v[20:21], -v[32:33]
	v_mul_f64 v[24:25], v[22:23], s[16:17]
	v_mov_b64_e32 v[22:23], v[14:15]
	v_fmac_f64_e32 v[12:13], s[28:29], v[20:21]
	v_fmac_f64_e32 v[22:23], -2.0, v[24:25]
	v_mul_f64 v[24:25], v[20:21], s[16:17]
	v_mov_b64_e32 v[20:21], v[12:13]
	v_fmac_f64_e32 v[20:21], 2.0, v[24:25]
	v_mul_f64 v[24:25], v[42:43], s[26:27]
	v_fmac_f64_e32 v[24:25], s[6:7], v[36:37]
	v_fma_f64 v[26:27], s[20:21], v[52:53], v[18:19]
	v_mul_f64 v[36:37], v[36:37], s[0:1]
	v_fmac_f64_e32 v[18:19], s[20:21], v[58:59]
	v_fmac_f64_e32 v[26:27], s[22:23], v[58:59]
	;; [unrolled: 1-line block ×5, first 2 shown]
	v_fmac_f64_e32 v[26:27], -0.5, v[56:57]
	v_fmac_f64_e32 v[36:37], s[16:17], v[38:39]
	v_fmac_f64_e32 v[18:19], -0.5, v[56:57]
	v_fmac_f64_e32 v[24:25], s[18:19], v[40:41]
	v_fmac_f64_e32 v[26:27], s[24:25], v[34:35]
	;; [unrolled: 1-line block ×4, first 2 shown]
	v_add_f64 v[8:9], v[28:29], v[8:9]
	v_add_f64 v[26:27], v[24:25], v[26:27]
	;; [unrolled: 1-line block ×4, first 2 shown]
	v_mov_b64_e32 v[30:31], v[26:27]
	v_mov_b64_e32 v[34:35], v[18:19]
	v_add_f64 v[8:9], v[16:17], v[8:9]
	v_fmac_f64_e32 v[30:31], -2.0, v[24:25]
	v_fma_f64 v[24:25], s[20:21], v[62:63], v[16:17]
	v_mul_f64 v[48:49], v[46:47], s[26:27]
	v_fmac_f64_e32 v[34:35], -2.0, v[36:37]
	v_fmac_f64_e32 v[16:17], s[20:21], v[66:67]
	v_mul_f64 v[36:37], v[44:45], s[0:1]
	v_fmac_f64_e32 v[24:25], s[22:23], v[66:67]
	v_fmac_f64_e32 v[48:49], s[6:7], v[44:45]
	;; [unrolled: 1-line block ×4, first 2 shown]
	v_fmac_f64_e32 v[24:25], -0.5, v[64:65]
	v_fmac_f64_e32 v[48:49], s[28:29], v[54:55]
	v_fmac_f64_e32 v[16:17], -0.5, v[64:65]
	v_fmac_f64_e32 v[36:37], s[16:17], v[54:55]
	v_fmac_f64_e32 v[24:25], s[24:25], v[60:61]
	;; [unrolled: 1-line block ×5, first 2 shown]
	v_add_f64 v[24:25], v[24:25], -v[48:49]
	v_add_f64 v[16:17], v[16:17], -v[36:37]
	v_mov_b64_e32 v[28:29], v[24:25]
	v_mov_b64_e32 v[32:33], v[16:17]
	v_fmac_f64_e32 v[28:29], 2.0, v[48:49]
	v_fmac_f64_e32 v[32:33], 2.0, v[36:37]
	ds_write_b128 v236, v[8:11] offset:2448
	ds_write_b128 v236, v[16:19] offset:5984
	;; [unrolled: 1-line block ×9, first 2 shown]
.LBB0_21:
	s_or_b64 exec, exec, s[30:31]
	s_waitcnt lgkmcnt(0)
	s_barrier
	s_and_b64 exec, exec, s[4:5]
	s_cbranch_execz .LBB0_23
; %bb.22:
	global_load_dwordx4 v[0:3], v236, s[12:13]
	v_mad_u64_u32 v[14:15], s[0:1], s10, v222, 0
	ds_read_b128 v[4:7], v236
	ds_read_b128 v[8:11], v236 offset:1872
	ds_read_b128 v[18:21], v236 offset:29952
	v_mov_b32_e32 v22, v15
	v_mad_u64_u32 v[16:17], s[2:3], s8, v208, 0
	v_mad_u64_u32 v[22:23], s[2:3], s11, v222, v[22:23]
	v_mov_b32_e32 v12, s14
	v_mov_b32_e32 v13, s15
	;; [unrolled: 1-line block ×4, first 2 shown]
	s_mov_b32 s0, 0x10798010
	v_mad_u64_u32 v[24:25], s[2:3], s9, v208, v[24:25]
	v_lshl_add_u64 v[12:13], v[14:15], 4, v[12:13]
	s_mov_b32 s1, 0x3f407980
	v_mov_b32_e32 v17, v24
	v_lshl_add_u64 v[12:13], v[16:17], 4, v[12:13]
	v_mov_b32_e32 v24, 0x750
	s_mul_i32 s2, s9, 0x750
	v_mov_b32_e32 v237, 0
	s_movk_i32 s3, 0x1000
	s_waitcnt vmcnt(0) lgkmcnt(2)
	v_mul_f64 v[14:15], v[6:7], v[2:3]
	v_mul_f64 v[2:3], v[4:5], v[2:3]
	v_fmac_f64_e32 v[14:15], v[4:5], v[0:1]
	v_fma_f64 v[2:3], v[0:1], v[6:7], -v[2:3]
	v_mul_f64 v[0:1], v[14:15], s[0:1]
	v_mul_f64 v[2:3], v[2:3], s[0:1]
	global_store_dwordx4 v[12:13], v[0:3], off
	global_load_dwordx4 v[0:3], v236, s[12:13] offset:1872
	v_mad_u64_u32 v[12:13], s[4:5], s8, v24, v[12:13]
	v_add_u32_e32 v13, s2, v13
	v_lshl_add_u64 v[14:15], s[12:13], 0, v[236:237]
	v_add_co_u32_e32 v16, vcc, s3, v14
	s_movk_i32 s3, 0x2000
	s_nop 0
	v_addc_co_u32_e32 v17, vcc, 0, v15, vcc
	s_waitcnt vmcnt(0) lgkmcnt(1)
	v_mul_f64 v[4:5], v[10:11], v[2:3]
	v_mul_f64 v[2:3], v[8:9], v[2:3]
	v_fmac_f64_e32 v[4:5], v[8:9], v[0:1]
	v_fma_f64 v[2:3], v[0:1], v[10:11], -v[2:3]
	v_mul_f64 v[0:1], v[4:5], s[0:1]
	v_mul_f64 v[2:3], v[2:3], s[0:1]
	global_store_dwordx4 v[12:13], v[0:3], off
	global_load_dwordx4 v[0:3], v236, s[12:13] offset:3744
	ds_read_b128 v[4:7], v236 offset:3744
	ds_read_b128 v[8:11], v236 offset:5616
	v_mad_u64_u32 v[12:13], s[4:5], s8, v24, v[12:13]
	v_add_u32_e32 v13, s2, v13
	s_waitcnt vmcnt(0) lgkmcnt(1)
	v_mul_f64 v[22:23], v[6:7], v[2:3]
	v_mul_f64 v[2:3], v[4:5], v[2:3]
	v_fmac_f64_e32 v[22:23], v[4:5], v[0:1]
	v_fma_f64 v[2:3], v[0:1], v[6:7], -v[2:3]
	v_mul_f64 v[0:1], v[22:23], s[0:1]
	v_mul_f64 v[2:3], v[2:3], s[0:1]
	global_store_dwordx4 v[12:13], v[0:3], off
	global_load_dwordx4 v[0:3], v[16:17], off offset:1520
	v_mad_u64_u32 v[12:13], s[4:5], s8, v24, v[12:13]
	v_add_u32_e32 v13, s2, v13
	s_waitcnt vmcnt(0) lgkmcnt(0)
	v_mul_f64 v[4:5], v[10:11], v[2:3]
	v_mul_f64 v[2:3], v[8:9], v[2:3]
	v_fmac_f64_e32 v[4:5], v[8:9], v[0:1]
	v_fma_f64 v[2:3], v[0:1], v[10:11], -v[2:3]
	v_mul_f64 v[0:1], v[4:5], s[0:1]
	v_mul_f64 v[2:3], v[2:3], s[0:1]
	global_store_dwordx4 v[12:13], v[0:3], off
	global_load_dwordx4 v[0:3], v[16:17], off offset:3392
	ds_read_b128 v[4:7], v236 offset:7488
	ds_read_b128 v[8:11], v236 offset:9360
	v_mad_u64_u32 v[12:13], s[4:5], s8, v24, v[12:13]
	v_add_co_u32_e32 v16, vcc, s3, v14
	v_add_u32_e32 v13, s2, v13
	s_nop 0
	v_addc_co_u32_e32 v17, vcc, 0, v15, vcc
	s_movk_i32 s3, 0x3000
	s_waitcnt vmcnt(0) lgkmcnt(1)
	v_mul_f64 v[22:23], v[6:7], v[2:3]
	v_mul_f64 v[2:3], v[4:5], v[2:3]
	v_fmac_f64_e32 v[22:23], v[4:5], v[0:1]
	v_fma_f64 v[2:3], v[0:1], v[6:7], -v[2:3]
	v_mul_f64 v[0:1], v[22:23], s[0:1]
	v_mul_f64 v[2:3], v[2:3], s[0:1]
	global_store_dwordx4 v[12:13], v[0:3], off
	global_load_dwordx4 v[0:3], v[16:17], off offset:1168
	v_mad_u64_u32 v[12:13], s[4:5], s8, v24, v[12:13]
	v_add_u32_e32 v13, s2, v13
	s_waitcnt vmcnt(0) lgkmcnt(0)
	v_mul_f64 v[4:5], v[10:11], v[2:3]
	v_mul_f64 v[2:3], v[8:9], v[2:3]
	v_fmac_f64_e32 v[4:5], v[8:9], v[0:1]
	v_fma_f64 v[2:3], v[0:1], v[10:11], -v[2:3]
	v_mul_f64 v[0:1], v[4:5], s[0:1]
	v_mul_f64 v[2:3], v[2:3], s[0:1]
	global_store_dwordx4 v[12:13], v[0:3], off
	global_load_dwordx4 v[0:3], v[16:17], off offset:3040
	ds_read_b128 v[4:7], v236 offset:11232
	ds_read_b128 v[8:11], v236 offset:13104
	v_mad_u64_u32 v[12:13], s[4:5], s8, v24, v[12:13]
	v_add_co_u32_e32 v16, vcc, s3, v14
	v_add_u32_e32 v13, s2, v13
	s_nop 0
	v_addc_co_u32_e32 v17, vcc, 0, v15, vcc
	s_movk_i32 s3, 0x4000
	;; [unrolled: 28-line block ×4, first 2 shown]
	s_waitcnt vmcnt(0) lgkmcnt(1)
	v_mul_f64 v[22:23], v[6:7], v[2:3]
	v_mul_f64 v[2:3], v[4:5], v[2:3]
	v_fmac_f64_e32 v[22:23], v[4:5], v[0:1]
	v_fma_f64 v[2:3], v[0:1], v[6:7], -v[2:3]
	v_mul_f64 v[0:1], v[22:23], s[0:1]
	v_mul_f64 v[2:3], v[2:3], s[0:1]
	global_store_dwordx4 v[12:13], v[0:3], off
	global_load_dwordx4 v[0:3], v[16:17], off offset:112
	v_mad_u64_u32 v[12:13], s[4:5], s8, v24, v[12:13]
	v_add_u32_e32 v13, s2, v13
	s_waitcnt vmcnt(0) lgkmcnt(0)
	v_mul_f64 v[4:5], v[10:11], v[2:3]
	v_mul_f64 v[2:3], v[8:9], v[2:3]
	v_fmac_f64_e32 v[4:5], v[8:9], v[0:1]
	v_fma_f64 v[2:3], v[0:1], v[10:11], -v[2:3]
	v_mul_f64 v[0:1], v[4:5], s[0:1]
	v_mul_f64 v[2:3], v[2:3], s[0:1]
	global_store_dwordx4 v[12:13], v[0:3], off
	global_load_dwordx4 v[0:3], v[16:17], off offset:1984
	ds_read_b128 v[4:7], v236 offset:22464
	ds_read_b128 v[8:11], v236 offset:24336
	v_mad_u64_u32 v[12:13], s[4:5], s8, v24, v[12:13]
	v_add_u32_e32 v13, s2, v13
	s_waitcnt vmcnt(0) lgkmcnt(1)
	v_mul_f64 v[22:23], v[6:7], v[2:3]
	v_mul_f64 v[2:3], v[4:5], v[2:3]
	v_fmac_f64_e32 v[22:23], v[4:5], v[0:1]
	v_fma_f64 v[2:3], v[0:1], v[6:7], -v[2:3]
	v_mul_f64 v[0:1], v[22:23], s[0:1]
	v_mul_f64 v[2:3], v[2:3], s[0:1]
	global_store_dwordx4 v[12:13], v[0:3], off
	global_load_dwordx4 v[0:3], v[16:17], off offset:3856
	v_mad_u64_u32 v[12:13], s[4:5], s8, v24, v[12:13]
	v_add_co_u32_e32 v16, vcc, s3, v14
	v_add_u32_e32 v13, s2, v13
	s_nop 0
	v_addc_co_u32_e32 v17, vcc, 0, v15, vcc
	s_movk_i32 s3, 0x7000
	s_waitcnt vmcnt(0) lgkmcnt(0)
	v_mul_f64 v[4:5], v[10:11], v[2:3]
	v_mul_f64 v[2:3], v[8:9], v[2:3]
	v_fmac_f64_e32 v[4:5], v[8:9], v[0:1]
	v_fma_f64 v[2:3], v[0:1], v[10:11], -v[2:3]
	v_mul_f64 v[0:1], v[4:5], s[0:1]
	v_mul_f64 v[2:3], v[2:3], s[0:1]
	global_store_dwordx4 v[12:13], v[0:3], off
	global_load_dwordx4 v[0:3], v[16:17], off offset:1632
	ds_read_b128 v[4:7], v236 offset:26208
	ds_read_b128 v[8:11], v236 offset:28080
	v_mad_u64_u32 v[12:13], s[4:5], s8, v24, v[12:13]
	v_add_u32_e32 v13, s2, v13
	s_waitcnt vmcnt(0) lgkmcnt(1)
	v_mul_f64 v[22:23], v[6:7], v[2:3]
	v_mul_f64 v[2:3], v[4:5], v[2:3]
	v_fmac_f64_e32 v[22:23], v[4:5], v[0:1]
	v_fma_f64 v[2:3], v[0:1], v[6:7], -v[2:3]
	v_mul_f64 v[0:1], v[22:23], s[0:1]
	v_mul_f64 v[2:3], v[2:3], s[0:1]
	global_store_dwordx4 v[12:13], v[0:3], off
	global_load_dwordx4 v[0:3], v[16:17], off offset:3504
	v_mad_u64_u32 v[6:7], s[4:5], s8, v24, v[12:13]
	v_add_co_u32_e32 v4, vcc, s3, v14
	v_add_u32_e32 v7, s2, v7
	s_nop 0
	v_addc_co_u32_e32 v5, vcc, 0, v15, vcc
	s_waitcnt vmcnt(0) lgkmcnt(0)
	v_mul_f64 v[12:13], v[10:11], v[2:3]
	v_mul_f64 v[2:3], v[8:9], v[2:3]
	v_fmac_f64_e32 v[12:13], v[8:9], v[0:1]
	v_fma_f64 v[2:3], v[0:1], v[10:11], -v[2:3]
	v_mul_f64 v[0:1], v[12:13], s[0:1]
	v_mul_f64 v[2:3], v[2:3], s[0:1]
	global_store_dwordx4 v[6:7], v[0:3], off
	global_load_dwordx4 v[0:3], v[4:5], off offset:1280
	v_mad_u64_u32 v[4:5], s[4:5], s8, v24, v[6:7]
	v_add_u32_e32 v5, s2, v5
	s_waitcnt vmcnt(0)
	v_mul_f64 v[6:7], v[20:21], v[2:3]
	v_mul_f64 v[2:3], v[18:19], v[2:3]
	v_fmac_f64_e32 v[6:7], v[18:19], v[0:1]
	v_fma_f64 v[2:3], v[0:1], v[20:21], -v[2:3]
	v_mul_f64 v[0:1], v[6:7], s[0:1]
	v_mul_f64 v[2:3], v[2:3], s[0:1]
	global_store_dwordx4 v[4:5], v[0:3], off
.LBB0_23:
	s_endpgm
	.section	.rodata,"a",@progbits
	.p2align	6, 0x0
	.amdhsa_kernel bluestein_single_fwd_len1989_dim1_dp_op_CI_CI
		.amdhsa_group_segment_fixed_size 31824
		.amdhsa_private_segment_fixed_size 0
		.amdhsa_kernarg_size 104
		.amdhsa_user_sgpr_count 2
		.amdhsa_user_sgpr_dispatch_ptr 0
		.amdhsa_user_sgpr_queue_ptr 0
		.amdhsa_user_sgpr_kernarg_segment_ptr 1
		.amdhsa_user_sgpr_dispatch_id 0
		.amdhsa_user_sgpr_kernarg_preload_length 0
		.amdhsa_user_sgpr_kernarg_preload_offset 0
		.amdhsa_user_sgpr_private_segment_size 0
		.amdhsa_uses_dynamic_stack 0
		.amdhsa_enable_private_segment 0
		.amdhsa_system_sgpr_workgroup_id_x 1
		.amdhsa_system_sgpr_workgroup_id_y 0
		.amdhsa_system_sgpr_workgroup_id_z 0
		.amdhsa_system_sgpr_workgroup_info 0
		.amdhsa_system_vgpr_workitem_id 0
		.amdhsa_next_free_vgpr 458
		.amdhsa_next_free_sgpr 64
		.amdhsa_accum_offset 256
		.amdhsa_reserve_vcc 1
		.amdhsa_float_round_mode_32 0
		.amdhsa_float_round_mode_16_64 0
		.amdhsa_float_denorm_mode_32 3
		.amdhsa_float_denorm_mode_16_64 3
		.amdhsa_dx10_clamp 1
		.amdhsa_ieee_mode 1
		.amdhsa_fp16_overflow 0
		.amdhsa_tg_split 0
		.amdhsa_exception_fp_ieee_invalid_op 0
		.amdhsa_exception_fp_denorm_src 0
		.amdhsa_exception_fp_ieee_div_zero 0
		.amdhsa_exception_fp_ieee_overflow 0
		.amdhsa_exception_fp_ieee_underflow 0
		.amdhsa_exception_fp_ieee_inexact 0
		.amdhsa_exception_int_div_zero 0
	.end_amdhsa_kernel
	.text
.Lfunc_end0:
	.size	bluestein_single_fwd_len1989_dim1_dp_op_CI_CI, .Lfunc_end0-bluestein_single_fwd_len1989_dim1_dp_op_CI_CI
                                        ; -- End function
	.section	.AMDGPU.csdata,"",@progbits
; Kernel info:
; codeLenInByte = 34852
; NumSgprs: 70
; NumVgprs: 256
; NumAgprs: 202
; TotalNumVgprs: 458
; ScratchSize: 0
; MemoryBound: 0
; FloatMode: 240
; IeeeMode: 1
; LDSByteSize: 31824 bytes/workgroup (compile time only)
; SGPRBlocks: 8
; VGPRBlocks: 57
; NumSGPRsForWavesPerEU: 70
; NumVGPRsForWavesPerEU: 458
; AccumOffset: 256
; Occupancy: 1
; WaveLimiterHint : 1
; COMPUTE_PGM_RSRC2:SCRATCH_EN: 0
; COMPUTE_PGM_RSRC2:USER_SGPR: 2
; COMPUTE_PGM_RSRC2:TRAP_HANDLER: 0
; COMPUTE_PGM_RSRC2:TGID_X_EN: 1
; COMPUTE_PGM_RSRC2:TGID_Y_EN: 0
; COMPUTE_PGM_RSRC2:TGID_Z_EN: 0
; COMPUTE_PGM_RSRC2:TIDIG_COMP_CNT: 0
; COMPUTE_PGM_RSRC3_GFX90A:ACCUM_OFFSET: 63
; COMPUTE_PGM_RSRC3_GFX90A:TG_SPLIT: 0
	.text
	.p2alignl 6, 3212836864
	.fill 256, 4, 3212836864
	.type	__hip_cuid_8b994e66a45fff8,@object ; @__hip_cuid_8b994e66a45fff8
	.section	.bss,"aw",@nobits
	.globl	__hip_cuid_8b994e66a45fff8
__hip_cuid_8b994e66a45fff8:
	.byte	0                               ; 0x0
	.size	__hip_cuid_8b994e66a45fff8, 1

	.ident	"AMD clang version 19.0.0git (https://github.com/RadeonOpenCompute/llvm-project roc-6.4.0 25133 c7fe45cf4b819c5991fe208aaa96edf142730f1d)"
	.section	".note.GNU-stack","",@progbits
	.addrsig
	.addrsig_sym __hip_cuid_8b994e66a45fff8
	.amdgpu_metadata
---
amdhsa.kernels:
  - .agpr_count:     202
    .args:
      - .actual_access:  read_only
        .address_space:  global
        .offset:         0
        .size:           8
        .value_kind:     global_buffer
      - .actual_access:  read_only
        .address_space:  global
        .offset:         8
        .size:           8
        .value_kind:     global_buffer
      - .actual_access:  read_only
        .address_space:  global
        .offset:         16
        .size:           8
        .value_kind:     global_buffer
      - .actual_access:  read_only
        .address_space:  global
        .offset:         24
        .size:           8
        .value_kind:     global_buffer
      - .actual_access:  read_only
        .address_space:  global
        .offset:         32
        .size:           8
        .value_kind:     global_buffer
      - .offset:         40
        .size:           8
        .value_kind:     by_value
      - .address_space:  global
        .offset:         48
        .size:           8
        .value_kind:     global_buffer
      - .address_space:  global
        .offset:         56
        .size:           8
        .value_kind:     global_buffer
      - .address_space:  global
        .offset:         64
        .size:           8
        .value_kind:     global_buffer
      - .address_space:  global
        .offset:         72
        .size:           8
        .value_kind:     global_buffer
      - .offset:         80
        .size:           4
        .value_kind:     by_value
      - .address_space:  global
        .offset:         88
        .size:           8
        .value_kind:     global_buffer
      - .address_space:  global
        .offset:         96
        .size:           8
        .value_kind:     global_buffer
    .group_segment_fixed_size: 31824
    .kernarg_segment_align: 8
    .kernarg_segment_size: 104
    .language:       OpenCL C
    .language_version:
      - 2
      - 0
    .max_flat_workgroup_size: 153
    .name:           bluestein_single_fwd_len1989_dim1_dp_op_CI_CI
    .private_segment_fixed_size: 0
    .sgpr_count:     70
    .sgpr_spill_count: 0
    .symbol:         bluestein_single_fwd_len1989_dim1_dp_op_CI_CI.kd
    .uniform_work_group_size: 1
    .uses_dynamic_stack: false
    .vgpr_count:     458
    .vgpr_spill_count: 0
    .wavefront_size: 64
amdhsa.target:   amdgcn-amd-amdhsa--gfx950
amdhsa.version:
  - 1
  - 2
...

	.end_amdgpu_metadata
